;; amdgpu-corpus repo=ROCm/rocFFT kind=compiled arch=gfx950 opt=O3
	.text
	.amdgcn_target "amdgcn-amd-amdhsa--gfx950"
	.amdhsa_code_object_version 6
	.protected	fft_rtc_fwd_len714_factors_3_17_7_2_wgs_51_tpt_51_halfLds_dp_op_CI_CI_unitstride_sbrr_dirReg ; -- Begin function fft_rtc_fwd_len714_factors_3_17_7_2_wgs_51_tpt_51_halfLds_dp_op_CI_CI_unitstride_sbrr_dirReg
	.globl	fft_rtc_fwd_len714_factors_3_17_7_2_wgs_51_tpt_51_halfLds_dp_op_CI_CI_unitstride_sbrr_dirReg
	.p2align	8
	.type	fft_rtc_fwd_len714_factors_3_17_7_2_wgs_51_tpt_51_halfLds_dp_op_CI_CI_unitstride_sbrr_dirReg,@function
fft_rtc_fwd_len714_factors_3_17_7_2_wgs_51_tpt_51_halfLds_dp_op_CI_CI_unitstride_sbrr_dirReg: ; @fft_rtc_fwd_len714_factors_3_17_7_2_wgs_51_tpt_51_halfLds_dp_op_CI_CI_unitstride_sbrr_dirReg
; %bb.0:
	s_load_dwordx4 s[4:7], s[0:1], 0x58
	s_load_dwordx4 s[8:11], s[0:1], 0x0
	;; [unrolled: 1-line block ×3, first 2 shown]
	v_mul_u32_u24_e32 v1, 0x506, v0
	v_add_u32_sdwa v6, s2, v1 dst_sel:DWORD dst_unused:UNUSED_PAD src0_sel:DWORD src1_sel:WORD_1
	v_mov_b32_e32 v4, 0
	s_waitcnt lgkmcnt(0)
	v_cmp_lt_u64_e64 s[2:3], s[10:11], 2
	v_mov_b32_e32 v7, v4
	s_and_b64 vcc, exec, s[2:3]
	v_mov_b64_e32 v[2:3], 0
	s_cbranch_vccnz .LBB0_8
; %bb.1:
	s_load_dwordx2 s[2:3], s[0:1], 0x10
	s_add_u32 s16, s14, 8
	s_addc_u32 s17, s15, 0
	s_add_u32 s18, s12, 8
	s_addc_u32 s19, s13, 0
	s_waitcnt lgkmcnt(0)
	s_add_u32 s20, s2, 8
	v_mov_b64_e32 v[2:3], 0
	s_addc_u32 s21, s3, 0
	s_mov_b64 s[22:23], 1
	v_mov_b64_e32 v[80:81], v[2:3]
.LBB0_2:                                ; =>This Inner Loop Header: Depth=1
	s_load_dwordx2 s[24:25], s[20:21], 0x0
                                        ; implicit-def: $vgpr84_vgpr85
	s_waitcnt lgkmcnt(0)
	v_or_b32_e32 v5, s25, v7
	v_cmp_ne_u64_e32 vcc, 0, v[4:5]
	s_and_saveexec_b64 s[2:3], vcc
	s_xor_b64 s[26:27], exec, s[2:3]
	s_cbranch_execz .LBB0_4
; %bb.3:                                ;   in Loop: Header=BB0_2 Depth=1
	v_cvt_f32_u32_e32 v1, s24
	v_cvt_f32_u32_e32 v5, s25
	s_sub_u32 s2, 0, s24
	s_subb_u32 s3, 0, s25
	v_fmac_f32_e32 v1, 0x4f800000, v5
	v_rcp_f32_e32 v1, v1
	s_nop 0
	v_mul_f32_e32 v1, 0x5f7ffffc, v1
	v_mul_f32_e32 v5, 0x2f800000, v1
	v_trunc_f32_e32 v5, v5
	v_fmac_f32_e32 v1, 0xcf800000, v5
	v_cvt_u32_f32_e32 v5, v5
	v_cvt_u32_f32_e32 v1, v1
	v_mul_lo_u32 v8, s2, v5
	v_mul_hi_u32 v10, s2, v1
	v_mul_lo_u32 v9, s3, v1
	v_add_u32_e32 v10, v10, v8
	v_mul_lo_u32 v12, s2, v1
	v_add_u32_e32 v13, v10, v9
	v_mul_hi_u32 v8, v1, v12
	v_mul_hi_u32 v11, v1, v13
	v_mul_lo_u32 v10, v1, v13
	v_mov_b32_e32 v9, v4
	v_lshl_add_u64 v[8:9], v[8:9], 0, v[10:11]
	v_mul_hi_u32 v11, v5, v12
	v_mul_lo_u32 v12, v5, v12
	v_add_co_u32_e32 v8, vcc, v8, v12
	v_mul_hi_u32 v10, v5, v13
	s_nop 0
	v_addc_co_u32_e32 v8, vcc, v9, v11, vcc
	v_mov_b32_e32 v9, v4
	s_nop 0
	v_addc_co_u32_e32 v11, vcc, 0, v10, vcc
	v_mul_lo_u32 v10, v5, v13
	v_lshl_add_u64 v[8:9], v[8:9], 0, v[10:11]
	v_add_co_u32_e32 v1, vcc, v1, v8
	v_mul_lo_u32 v10, s2, v1
	s_nop 0
	v_addc_co_u32_e32 v5, vcc, v5, v9, vcc
	v_mul_lo_u32 v8, s2, v5
	v_mul_hi_u32 v9, s2, v1
	v_add_u32_e32 v8, v9, v8
	v_mul_lo_u32 v9, s3, v1
	v_add_u32_e32 v12, v8, v9
	v_mul_hi_u32 v14, v5, v10
	v_mul_lo_u32 v15, v5, v10
	v_mul_hi_u32 v9, v1, v12
	v_mul_lo_u32 v8, v1, v12
	v_mul_hi_u32 v10, v1, v10
	v_mov_b32_e32 v11, v4
	v_lshl_add_u64 v[8:9], v[10:11], 0, v[8:9]
	v_add_co_u32_e32 v8, vcc, v8, v15
	v_mul_hi_u32 v13, v5, v12
	s_nop 0
	v_addc_co_u32_e32 v8, vcc, v9, v14, vcc
	v_mul_lo_u32 v10, v5, v12
	s_nop 0
	v_addc_co_u32_e32 v11, vcc, 0, v13, vcc
	v_mov_b32_e32 v9, v4
	v_lshl_add_u64 v[8:9], v[8:9], 0, v[10:11]
	v_add_co_u32_e32 v1, vcc, v1, v8
	v_mul_hi_u32 v10, v6, v1
	s_nop 0
	v_addc_co_u32_e32 v5, vcc, v5, v9, vcc
	v_mad_u64_u32 v[8:9], s[2:3], v6, v5, 0
	v_mov_b32_e32 v11, v4
	v_lshl_add_u64 v[8:9], v[10:11], 0, v[8:9]
	v_mad_u64_u32 v[12:13], s[2:3], v7, v1, 0
	v_add_co_u32_e32 v1, vcc, v8, v12
	v_mad_u64_u32 v[10:11], s[2:3], v7, v5, 0
	s_nop 0
	v_addc_co_u32_e32 v8, vcc, v9, v13, vcc
	v_mov_b32_e32 v9, v4
	s_nop 0
	v_addc_co_u32_e32 v11, vcc, 0, v11, vcc
	v_lshl_add_u64 v[8:9], v[8:9], 0, v[10:11]
	v_mul_lo_u32 v1, s25, v8
	v_mul_lo_u32 v5, s24, v9
	v_mad_u64_u32 v[10:11], s[2:3], s24, v8, 0
	v_add3_u32 v1, v11, v5, v1
	v_sub_u32_e32 v5, v7, v1
	v_mov_b32_e32 v11, s25
	v_sub_co_u32_e32 v14, vcc, v6, v10
	v_lshl_add_u64 v[12:13], v[8:9], 0, 1
	s_nop 0
	v_subb_co_u32_e64 v5, s[2:3], v5, v11, vcc
	v_subrev_co_u32_e64 v10, s[2:3], s24, v14
	v_subb_co_u32_e32 v1, vcc, v7, v1, vcc
	s_nop 0
	v_subbrev_co_u32_e64 v5, s[2:3], 0, v5, s[2:3]
	v_cmp_le_u32_e64 s[2:3], s25, v5
	v_cmp_le_u32_e32 vcc, s25, v1
	s_nop 0
	v_cndmask_b32_e64 v11, 0, -1, s[2:3]
	v_cmp_le_u32_e64 s[2:3], s24, v10
	s_nop 1
	v_cndmask_b32_e64 v10, 0, -1, s[2:3]
	v_cmp_eq_u32_e64 s[2:3], s25, v5
	s_nop 1
	v_cndmask_b32_e64 v5, v11, v10, s[2:3]
	v_lshl_add_u64 v[10:11], v[8:9], 0, 2
	v_cmp_ne_u32_e64 s[2:3], 0, v5
	s_nop 1
	v_cndmask_b32_e64 v5, v13, v11, s[2:3]
	v_cndmask_b32_e64 v11, 0, -1, vcc
	v_cmp_le_u32_e32 vcc, s24, v14
	s_nop 1
	v_cndmask_b32_e64 v13, 0, -1, vcc
	v_cmp_eq_u32_e32 vcc, s25, v1
	s_nop 1
	v_cndmask_b32_e32 v1, v11, v13, vcc
	v_cmp_ne_u32_e32 vcc, 0, v1
	v_cndmask_b32_e64 v1, v12, v10, s[2:3]
	s_nop 0
	v_cndmask_b32_e32 v85, v9, v5, vcc
	v_cndmask_b32_e32 v84, v8, v1, vcc
.LBB0_4:                                ;   in Loop: Header=BB0_2 Depth=1
	s_andn2_saveexec_b64 s[2:3], s[26:27]
	s_cbranch_execz .LBB0_6
; %bb.5:                                ;   in Loop: Header=BB0_2 Depth=1
	v_cvt_f32_u32_e32 v1, s24
	s_sub_i32 s26, 0, s24
	v_mov_b32_e32 v85, v4
	v_rcp_iflag_f32_e32 v1, v1
	s_nop 0
	v_mul_f32_e32 v1, 0x4f7ffffe, v1
	v_cvt_u32_f32_e32 v1, v1
	v_mul_lo_u32 v5, s26, v1
	v_mul_hi_u32 v5, v1, v5
	v_add_u32_e32 v1, v1, v5
	v_mul_hi_u32 v1, v6, v1
	v_mul_lo_u32 v5, v1, s24
	v_sub_u32_e32 v5, v6, v5
	v_add_u32_e32 v8, 1, v1
	v_subrev_u32_e32 v9, s24, v5
	v_cmp_le_u32_e32 vcc, s24, v5
	s_nop 1
	v_cndmask_b32_e32 v5, v5, v9, vcc
	v_cndmask_b32_e32 v1, v1, v8, vcc
	v_add_u32_e32 v8, 1, v1
	v_cmp_le_u32_e32 vcc, s24, v5
	s_nop 1
	v_cndmask_b32_e32 v84, v1, v8, vcc
.LBB0_6:                                ;   in Loop: Header=BB0_2 Depth=1
	s_or_b64 exec, exec, s[2:3]
	v_mad_u64_u32 v[8:9], s[2:3], v84, s24, 0
	s_load_dwordx2 s[2:3], s[18:19], 0x0
	v_mul_lo_u32 v1, v85, s24
	v_mul_lo_u32 v5, v84, s25
	s_load_dwordx2 s[24:25], s[16:17], 0x0
	s_add_u32 s22, s22, 1
	v_add3_u32 v1, v9, v5, v1
	v_sub_co_u32_e32 v5, vcc, v6, v8
	s_addc_u32 s23, s23, 0
	s_nop 0
	v_subb_co_u32_e32 v1, vcc, v7, v1, vcc
	s_add_u32 s16, s16, 8
	s_waitcnt lgkmcnt(0)
	v_mul_lo_u32 v6, s2, v1
	v_mul_lo_u32 v7, s3, v5
	v_mad_u64_u32 v[2:3], s[2:3], s2, v5, v[2:3]
	s_addc_u32 s17, s17, 0
	v_add3_u32 v3, v7, v3, v6
	v_mul_lo_u32 v1, s24, v1
	v_mul_lo_u32 v6, s25, v5
	v_mad_u64_u32 v[80:81], s[2:3], s24, v5, v[80:81]
	s_add_u32 s18, s18, 8
	v_add3_u32 v81, v6, v81, v1
	s_addc_u32 s19, s19, 0
	v_mov_b64_e32 v[6:7], s[10:11]
	s_add_u32 s20, s20, 8
	v_cmp_ge_u64_e32 vcc, s[22:23], v[6:7]
	s_addc_u32 s21, s21, 0
	s_cbranch_vccnz .LBB0_9
; %bb.7:                                ;   in Loop: Header=BB0_2 Depth=1
	v_mov_b64_e32 v[6:7], v[84:85]
	s_branch .LBB0_2
.LBB0_8:
	v_mov_b64_e32 v[80:81], v[2:3]
	v_mov_b64_e32 v[84:85], v[6:7]
.LBB0_9:
	s_load_dwordx2 s[2:3], s[0:1], 0x28
	s_lshl_b64 s[16:17], s[10:11], 3
	s_add_u32 s10, s14, s16
	s_addc_u32 s11, s15, s17
                                        ; implicit-def: $vgpr82
	s_waitcnt lgkmcnt(0)
	v_cmp_gt_u64_e64 s[0:1], s[2:3], v[84:85]
	v_cmp_le_u64_e32 vcc, s[2:3], v[84:85]
	s_and_saveexec_b64 s[2:3], vcc
	s_xor_b64 s[2:3], exec, s[2:3]
; %bb.10:
	s_mov_b32 s14, 0x5050506
	v_mul_hi_u32 v1, v0, s14
	v_mul_u32_u24_e32 v1, 51, v1
	v_sub_u32_e32 v82, v0, v1
                                        ; implicit-def: $vgpr0
                                        ; implicit-def: $vgpr2_vgpr3
; %bb.11:
	s_or_saveexec_b64 s[2:3], s[2:3]
	s_load_dwordx2 s[10:11], s[10:11], 0x0
                                        ; implicit-def: $vgpr78_vgpr79
                                        ; implicit-def: $vgpr70_vgpr71
                                        ; implicit-def: $vgpr26_vgpr27
                                        ; implicit-def: $vgpr54_vgpr55
                                        ; implicit-def: $vgpr46_vgpr47
                                        ; implicit-def: $vgpr22_vgpr23
                                        ; implicit-def: $vgpr66_vgpr67
                                        ; implicit-def: $vgpr58_vgpr59
                                        ; implicit-def: $vgpr18_vgpr19
                                        ; implicit-def: $vgpr50_vgpr51
                                        ; implicit-def: $vgpr42_vgpr43
                                        ; implicit-def: $vgpr10_vgpr11
                                        ; implicit-def: $vgpr74_vgpr75
                                        ; implicit-def: $vgpr62_vgpr63
                                        ; implicit-def: $vgpr14_vgpr15
	s_xor_b64 exec, exec, s[2:3]
	s_cbranch_execz .LBB0_15
; %bb.12:
	s_add_u32 s12, s12, s16
	s_addc_u32 s13, s13, s17
	s_load_dwordx2 s[12:13], s[12:13], 0x0
	s_mov_b32 s14, 0x5050506
                                        ; implicit-def: $vgpr24_vgpr25
                                        ; implicit-def: $vgpr68_vgpr69
                                        ; implicit-def: $vgpr76_vgpr77
	s_waitcnt lgkmcnt(0)
	v_mul_lo_u32 v1, s13, v84
	v_mul_lo_u32 v6, s12, v85
	v_mad_u64_u32 v[4:5], s[12:13], s12, v84, 0
	v_add3_u32 v5, v5, v6, v1
	v_mul_hi_u32 v1, v0, s14
	v_mul_u32_u24_e32 v1, 51, v1
	v_sub_u32_e32 v82, v0, v1
	v_lshl_add_u64 v[0:1], v[4:5], 4, s[4:5]
	v_lshl_add_u64 v[0:1], v[2:3], 4, v[0:1]
	v_lshlrev_b32_e32 v2, 4, v82
	v_mov_b32_e32 v3, 0
	v_lshl_add_u64 v[0:1], v[0:1], 0, v[2:3]
	s_movk_i32 s4, 0x1000
	v_add_co_u32_e32 v2, vcc, s4, v0
	s_movk_i32 s4, 0x2000
	s_nop 0
	v_addc_co_u32_e32 v3, vcc, 0, v1, vcc
	v_add_co_u32_e32 v4, vcc, s4, v0
	global_load_dwordx4 v[12:15], v[0:1], off
	global_load_dwordx4 v[8:11], v[0:1], off offset:816
	global_load_dwordx4 v[60:63], v[0:1], off offset:3808
	;; [unrolled: 1-line block ×3, first 2 shown]
	v_addc_co_u32_e32 v5, vcc, 0, v1, vcc
	global_load_dwordx4 v[72:75], v[2:3], off offset:3520
	global_load_dwordx4 v[48:51], v[4:5], off offset:240
	;; [unrolled: 1-line block ×8, first 2 shown]
	v_cmp_gt_u32_e32 vcc, 34, v82
	s_and_saveexec_b64 s[4:5], vcc
	s_cbranch_execz .LBB0_14
; %bb.13:
	v_add_co_u32_e32 v2, vcc, 0x1000, v0
	s_nop 1
	v_addc_co_u32_e32 v3, vcc, 0, v1, vcc
	global_load_dwordx4 v[24:27], v[0:1], off offset:3264
	global_load_dwordx4 v[68:71], v[2:3], off offset:2976
	v_add_co_u32_e32 v0, vcc, 0x2000, v0
	s_nop 1
	v_addc_co_u32_e32 v1, vcc, 0, v1, vcc
	global_load_dwordx4 v[76:79], v[0:1], off offset:2688
.LBB0_14:
	s_or_b64 exec, exec, s[4:5]
.LBB0_15:
	s_or_b64 exec, exec, s[2:3]
	s_waitcnt vmcnt(9)
	v_add_f64 v[0:1], v[60:61], v[12:13]
	s_waitcnt vmcnt(7)
	v_add_f64 v[4:5], v[72:73], v[0:1]
	v_add_f64 v[0:1], v[72:73], v[60:61]
	s_mov_b32 s2, 0xe8584caa
	v_fmac_f64_e32 v[12:13], -0.5, v[0:1]
	v_add_f64 v[0:1], v[62:63], -v[74:75]
	s_mov_b32 s3, 0x3febb67a
	s_mov_b32 s5, 0xbfebb67a
	;; [unrolled: 1-line block ×3, first 2 shown]
	s_waitcnt vmcnt(6)
	v_add_f64 v[2:3], v[48:49], v[40:41]
	v_fma_f64 v[6:7], s[2:3], v[0:1], v[12:13]
	v_fmac_f64_e32 v[12:13], s[4:5], v[0:1]
	v_add_f64 v[0:1], v[40:41], v[8:9]
	v_fmac_f64_e32 v[8:9], -0.5, v[2:3]
	v_add_f64 v[2:3], v[42:43], -v[50:51]
	v_fma_f64 v[98:99], s[2:3], v[2:3], v[8:9]
	v_fmac_f64_e32 v[8:9], s[4:5], v[2:3]
	s_waitcnt vmcnt(3)
	v_add_f64 v[2:3], v[56:57], v[16:17]
	s_waitcnt vmcnt(1)
	v_add_f64 v[28:29], v[64:65], v[56:57]
	v_fmac_f64_e32 v[16:17], -0.5, v[28:29]
	v_add_f64 v[28:29], v[64:65], v[2:3]
	v_add_f64 v[2:3], v[58:59], -v[66:67]
	s_waitcnt vmcnt(0)
	v_add_f64 v[32:33], v[52:53], v[44:45]
	v_fma_f64 v[30:31], s[2:3], v[2:3], v[16:17]
	v_fmac_f64_e32 v[16:17], s[4:5], v[2:3]
	v_add_f64 v[2:3], v[44:45], v[20:21]
	v_fmac_f64_e32 v[20:21], -0.5, v[32:33]
	v_add_f64 v[32:33], v[46:47], -v[54:55]
	v_add_f64 v[34:35], v[76:77], v[68:69]
	v_mad_u32_u24 v83, v82, 24, 0
	v_fma_f64 v[100:101], s[2:3], v[32:33], v[20:21]
	v_fmac_f64_e32 v[20:21], s[4:5], v[32:33]
	v_add_f64 v[32:33], v[68:69], v[24:25]
	v_fmac_f64_e32 v[24:25], -0.5, v[34:35]
	v_add_f64 v[36:37], v[70:71], -v[78:79]
	v_add_f64 v[102:103], v[52:53], v[2:3]
	v_add_u32_e32 v2, 0xe58, v83
	v_add_f64 v[32:33], v[76:77], v[32:33]
	v_fma_f64 v[34:35], s[2:3], v[36:37], v[24:25]
	v_fmac_f64_e32 v[24:25], s[4:5], v[36:37]
	v_add_u32_e32 v36, 0x990, v83
	ds_write2_b64 v2, v[102:103], v[100:101] offset1:1
	v_add_u32_e32 v2, 0x800, v83
	v_add_f64 v[86:87], v[48:49], v[0:1]
	v_cmp_gt_u32_e64 s[2:3], 34, v82
	ds_write2_b64 v36, v[28:29], v[30:31] offset1:1
	ds_write2_b64 v2, v[16:17], v[20:21] offset0:52 offset1:205
	ds_write2_b64 v83, v[4:5], v[6:7] offset1:1
	ds_write2_b64 v83, v[86:87], v[98:99] offset0:153 offset1:154
	ds_write2_b64 v83, v[12:13], v[8:9] offset0:2 offset1:155
	s_and_saveexec_b64 s[4:5], s[2:3]
	s_cbranch_execz .LBB0_17
; %bb.16:
	v_add_u32_e32 v0, 0x1320, v83
	ds_write2_b64 v0, v[32:33], v[34:35] offset1:1
	ds_write_b64 v83, v[24:25] offset:4912
.LBB0_17:
	s_or_b64 exec, exec, s[4:5]
	v_cmp_gt_u32_e32 vcc, 42, v82
	s_waitcnt lgkmcnt(0)
	; wave barrier
	s_waitcnt lgkmcnt(0)
                                        ; implicit-def: $vgpr104_vgpr105
                                        ; implicit-def: $vgpr38_vgpr39
	s_and_saveexec_b64 s[4:5], vcc
	s_cbranch_execz .LBB0_19
; %bb.18:
	v_lshlrev_b32_e32 v0, 4, v82
	v_sub_u32_e32 v8, v83, v0
	v_add_u32_e32 v9, 0x400, v8
	ds_read2_b64 v[4:7], v8 offset1:42
	ds_read2_b64 v[0:3], v8 offset0:84 offset1:126
	ds_read2_b64 v[86:89], v8 offset0:168 offset1:210
	;; [unrolled: 1-line block ×3, first 2 shown]
	v_add_u32_e32 v9, 0x800, v8
	v_add_u32_e32 v12, 0x1000, v8
	ds_read2_b64 v[90:93], v9 offset0:80 offset1:122
	ds_read2_b64 v[36:39], v12 offset0:76 offset1:118
	;; [unrolled: 1-line block ×3, first 2 shown]
	v_add_u32_e32 v9, 0xc00, v8
	ds_read2_b64 v[32:35], v9 offset0:120 offset1:162
	ds_read_b64 v[104:105], v8 offset:5376
	s_waitcnt lgkmcnt(0)
	v_mov_b64_e32 v[8:9], v[88:89]
	v_mov_b64_e32 v[24:25], v[36:37]
	;; [unrolled: 1-line block ×9, first 2 shown]
.LBB0_19:
	s_or_b64 exec, exec, s[4:5]
	v_add_f64 v[2:3], v[74:75], v[62:63]
	s_mov_b32 s4, 0xe8584caa
	v_add_f64 v[0:1], v[62:63], v[14:15]
	v_fmac_f64_e32 v[14:15], -0.5, v[2:3]
	v_add_f64 v[36:37], v[60:61], -v[72:73]
	s_mov_b32 s5, 0xbfebb67a
	s_mov_b32 s13, 0x3febb67a
	;; [unrolled: 1-line block ×3, first 2 shown]
	v_fma_f64 v[2:3], s[4:5], v[36:37], v[14:15]
	v_fmac_f64_e32 v[14:15], s[12:13], v[36:37]
	v_add_f64 v[36:37], v[42:43], v[10:11]
	v_add_f64 v[106:107], v[50:51], v[36:37]
	v_add_f64 v[36:37], v[50:51], v[42:43]
	v_fmac_f64_e32 v[10:11], -0.5, v[36:37]
	v_add_f64 v[36:37], v[40:41], -v[48:49]
	v_fma_f64 v[108:109], s[4:5], v[36:37], v[10:11]
	v_fmac_f64_e32 v[10:11], s[12:13], v[36:37]
	v_add_f64 v[36:37], v[58:59], v[18:19]
	v_add_f64 v[40:41], v[66:67], v[36:37]
	v_add_f64 v[36:37], v[66:67], v[58:59]
	v_fmac_f64_e32 v[18:19], -0.5, v[36:37]
	v_add_f64 v[36:37], v[56:57], -v[64:65]
	;; [unrolled: 7-line block ×4, first 2 shown]
	v_add_f64 v[0:1], v[74:75], v[0:1]
	v_fma_f64 v[46:47], s[4:5], v[36:37], v[26:27]
	v_fmac_f64_e32 v[26:27], s[12:13], v[36:37]
	v_add_u32_e32 v36, 0x990, v83
	s_waitcnt lgkmcnt(0)
	; wave barrier
	s_waitcnt lgkmcnt(0)
	ds_write2_b64 v83, v[0:1], v[2:3] offset1:1
	ds_write2_b64 v83, v[106:107], v[108:109] offset0:153 offset1:154
	ds_write2_b64 v83, v[14:15], v[10:11] offset0:2 offset1:155
	ds_write2_b64 v36, v[40:41], v[42:43] offset1:1
	v_add_u32_e32 v36, 0xe58, v83
	ds_write2_b64 v36, v[110:111], v[112:113] offset1:1
	v_add_u32_e32 v36, 0x800, v83
	ds_write2_b64 v36, v[18:19], v[22:23] offset0:52 offset1:205
	s_and_saveexec_b64 s[4:5], s[2:3]
	s_cbranch_execz .LBB0_21
; %bb.20:
	v_add_u32_e32 v36, 0x1320, v83
	ds_write2_b64 v36, v[44:45], v[46:47] offset1:1
	ds_write_b64 v83, v[26:27] offset:4912
.LBB0_21:
	s_or_b64 exec, exec, s[4:5]
	v_lshl_add_u32 v132, v82, 3, 0
	s_waitcnt lgkmcnt(0)
	; wave barrier
	s_waitcnt lgkmcnt(0)
                                        ; implicit-def: $vgpr114_vgpr115
                                        ; implicit-def: $vgpr50_vgpr51
	s_and_saveexec_b64 s[2:3], vcc
	s_cbranch_execz .LBB0_23
; %bb.22:
	v_add_u32_e32 v10, 0x400, v132
	ds_read2_b64 v[0:3], v132 offset1:42
	ds_read2_b64 v[52:55], v132 offset0:84 offset1:126
	ds_read2_b64 v[56:59], v132 offset0:168 offset1:210
	;; [unrolled: 1-line block ×3, first 2 shown]
	v_add_u32_e32 v10, 0x800, v132
	v_add_u32_e32 v11, 0x1000, v132
	ds_read2_b64 v[60:63], v10 offset0:80 offset1:122
	ds_read2_b64 v[48:51], v11 offset0:76 offset1:118
	;; [unrolled: 1-line block ×3, first 2 shown]
	v_add_u32_e32 v10, 0xc00, v132
	ds_read2_b64 v[44:47], v10 offset0:120 offset1:162
	ds_read_b64 v[114:115], v132 offset:5376
	s_waitcnt lgkmcnt(6)
	v_mov_b64_e32 v[10:11], v[58:59]
	s_waitcnt lgkmcnt(3)
	v_mov_b64_e32 v[26:27], v[48:49]
	s_waitcnt lgkmcnt(2)
	v_mov_b64_e32 v[22:23], v[66:67]
	v_mov_b64_e32 v[112:113], v[64:65]
	v_mov_b64_e32 v[110:111], v[62:63]
	;; [unrolled: 1-line block ×6, first 2 shown]
.LBB0_23:
	s_or_b64 exec, exec, s[2:3]
	s_movk_i32 s2, 0xab
	v_mul_lo_u16_sdwa v36, v82, s2 dst_sel:DWORD dst_unused:UNUSED_PAD src0_sel:BYTE_0 src1_sel:DWORD
	v_lshrrev_b16_e32 v83, 9, v36
	v_mul_lo_u16_e32 v36, 3, v83
	v_sub_u16_e32 v133, v82, v36
	v_mov_b32_e32 v36, 8
	v_lshlrev_b32_sdwa v36, v36, v133 dst_sel:DWORD dst_unused:UNUSED_PAD src0_sel:DWORD src1_sel:BYTE_0
	global_load_dwordx4 v[52:55], v36, s[8:9] offset:16
	global_load_dwordx4 v[58:61], v36, s[8:9] offset:64
	;; [unrolled: 1-line block ×13, first 2 shown]
	global_load_dwordx4 v[154:157], v36, s[8:9]
	global_load_dwordx4 v[158:161], v36, s[8:9] offset:224
	global_load_dwordx4 v[162:165], v36, s[8:9] offset:240
	s_waitcnt lgkmcnt(0)
	; wave barrier
	s_waitcnt vmcnt(15) lgkmcnt(0)
	v_mul_f64 v[64:65], v[14:15], v[54:55]
	v_mul_f64 v[88:89], v[12:13], v[54:55]
	s_waitcnt vmcnt(14)
	v_mul_f64 v[66:67], v[10:11], v[60:61]
	v_mul_f64 v[62:63], v[8:9], v[60:61]
	s_waitcnt vmcnt(13)
	;; [unrolled: 3-line block ×5, first 2 shown]
	v_mul_f64 v[118:119], v[22:23], v[122:123]
	v_mul_f64 v[56:57], v[20:21], v[122:123]
	v_fma_f64 v[90:91], v[12:13], v[52:53], -v[64:65]
	v_fmac_f64_e32 v[88:89], v[14:15], v[52:53]
	s_waitcnt vmcnt(9)
	v_mul_f64 v[12:13], v[44:45], v[126:127]
	v_mul_f64 v[64:65], v[32:33], v[126:127]
	s_waitcnt vmcnt(8)
	v_mul_f64 v[14:15], v[46:47], v[130:131]
	v_mul_f64 v[70:71], v[34:35], v[130:131]
	v_fma_f64 v[66:67], v[8:9], v[58:59], -v[66:67]
	v_fmac_f64_e32 v[62:63], v[10:11], v[58:59]
	s_waitcnt vmcnt(7)
	v_mul_f64 v[8:9], v[26:27], v[136:137]
	v_mul_f64 v[74:75], v[24:25], v[136:137]
	s_waitcnt vmcnt(6)
	v_mul_f64 v[10:11], v[106:107], v[140:141]
	v_mul_f64 v[76:77], v[86:87], v[140:141]
	v_fma_f64 v[58:59], v[28:29], v[68:69], -v[60:61]
	v_fmac_f64_e32 v[54:55], v[40:41], v[68:69]
	s_waitcnt vmcnt(5)
	v_mul_f64 v[28:29], v[108:109], v[144:145]
	v_mul_f64 v[72:73], v[98:99], v[144:145]
	v_fma_f64 v[52:53], v[30:31], v[92:93], -v[78:79]
	s_waitcnt vmcnt(4)
	v_mul_f64 v[122:123], v[110:111], v[148:149]
	v_mul_f64 v[30:31], v[102:103], v[148:149]
	v_fmac_f64_e32 v[48:49], v[42:43], v[92:93]
	s_waitcnt vmcnt(3)
	v_mul_f64 v[126:127], v[112:113], v[152:153]
	v_mul_f64 v[42:43], v[100:101], v[152:153]
	s_waitcnt vmcnt(2)
	v_mul_f64 v[130:131], v[2:3], v[156:157]
	v_mul_f64 v[94:95], v[6:7], v[156:157]
	v_fma_f64 v[40:41], v[16:17], v[116:117], -v[96:97]
	v_fmac_f64_e32 v[36:37], v[18:19], v[116:117]
	s_waitcnt vmcnt(1)
	v_mul_f64 v[16:17], v[50:51], v[160:161]
	v_mul_f64 v[92:93], v[38:39], v[160:161]
	s_waitcnt vmcnt(0)
	v_mul_f64 v[18:19], v[114:115], v[164:165]
	v_mul_f64 v[96:97], v[104:105], v[164:165]
	v_fma_f64 v[60:61], v[20:21], v[120:121], -v[118:119]
	v_fmac_f64_e32 v[56:57], v[22:23], v[120:121]
	v_fma_f64 v[68:69], v[32:33], v[124:125], -v[12:13]
	v_fmac_f64_e32 v[64:65], v[44:45], v[124:125]
	;; [unrolled: 2-line block ×11, first 2 shown]
	s_and_saveexec_b64 s[2:3], vcc
	s_cbranch_execz .LBB0_25
; %bb.24:
	s_mov_b32 s28, 0xacd6c6b4
	s_mov_b32 s38, 0x5d8e7cdc
	v_add_f64 v[112:113], v[94:95], -v[96:97]
	s_mov_b32 s29, 0xbfc7851a
	s_mov_b32 s30, 0x7faef3
	s_mov_b32 s24, 0x4363dd80
	v_add_f64 v[114:115], v[88:89], -v[92:93]
	s_mov_b32 s39, 0x3fd71e95
	s_mov_b32 s22, 0x370991
	v_add_f64 v[110:111], v[98:99], v[50:51]
	v_mul_f64 v[120:121], v[112:113], s[28:29]
	s_mov_b32 s31, 0xbfef7484
	s_mov_b32 s44, 0x2a9d6da3
	v_add_f64 v[108:109], v[76:77], -v[74:75]
	s_mov_b32 s25, 0xbfe0d888
	s_mov_b32 s26, 0x910ea3b9
	v_add_f64 v[106:107], v[90:91], v[38:39]
	v_mul_f64 v[100:101], v[114:115], s[38:39]
	s_mov_b32 s23, 0x3fedd6d0
	v_fma_f64 v[116:117], s[30:31], v[110:111], v[120:121]
	s_mov_b32 s18, 0x6c9a05f6
	v_add_f64 v[104:105], v[72:73], -v[70:71]
	s_mov_b32 s45, 0x3fe58eea
	s_mov_b32 s20, 0x75d4884
	v_add_f64 v[102:103], v[86:87], v[78:79]
	v_mul_f64 v[16:17], v[108:109], s[24:25]
	s_mov_b32 s27, 0xbfeb34fa
	v_fma_f64 v[2:3], s[22:23], v[106:107], v[100:101]
	v_add_f64 v[116:117], v[4:5], v[116:117]
	v_fma_f64 v[120:121], v[110:111], s[30:31], -v[120:121]
	s_mov_b32 s34, 0x7c9e640b
	v_add_f64 v[26:27], v[62:63], -v[64:65]
	s_mov_b32 s19, 0xbfe9895b
	s_mov_b32 s16, 0x6ed5f1bb
	v_add_f64 v[28:29], v[46:47], v[44:45]
	v_mul_f64 v[12:13], v[104:105], s[44:45]
	s_mov_b32 s21, 0x3fe7a5f6
	v_add_f64 v[2:3], v[2:3], v[116:117]
	v_fma_f64 v[116:117], s[26:27], v[102:103], v[16:17]
	v_fma_f64 v[100:101], v[106:107], s[22:23], -v[100:101]
	v_add_f64 v[120:121], v[4:5], v[120:121]
	s_mov_b32 s12, 0x923c349f
	v_add_f64 v[22:23], v[54:55], -v[56:57]
	s_mov_b32 s35, 0x3feca52d
	s_mov_b32 s14, 0x2b2883cd
	v_add_f64 v[24:25], v[66:67], v[68:69]
	v_mul_f64 v[10:11], v[26:27], s[18:19]
	s_mov_b32 s17, 0xbfe348c8
	v_add_f64 v[2:3], v[116:117], v[2:3]
	v_fma_f64 v[116:117], s[20:21], v[28:29], v[12:13]
	v_add_f64 v[100:101], v[100:101], v[120:121]
	v_fma_f64 v[16:17], v[102:103], s[26:27], -v[16:17]
	v_add_f64 v[18:19], v[48:49], -v[42:43]
	s_mov_b32 s13, 0xbfeec746
	s_mov_b32 s4, 0xc61f0d01
	v_add_f64 v[20:21], v[58:59], v[60:61]
	v_mul_f64 v[8:9], v[22:23], s[34:35]
	s_mov_b32 s15, 0x3fdc86fa
	v_add_f64 v[2:3], v[116:117], v[2:3]
	v_fma_f64 v[116:117], s[16:17], v[24:25], v[10:11]
	v_add_f64 v[16:17], v[16:17], v[100:101]
	v_fma_f64 v[12:13], v[28:29], s[20:21], -v[12:13]
	v_add_f64 v[14:15], v[52:53], v[34:35]
	v_mul_f64 v[6:7], v[18:19], s[12:13]
	s_mov_b32 s5, 0xbfd183b1
	v_add_f64 v[2:3], v[116:117], v[2:3]
	v_fma_f64 v[116:117], s[14:15], v[20:21], v[8:9]
	s_mov_b32 s56, 0xeb564b22
	v_fma_f64 v[10:11], v[24:25], s[16:17], -v[10:11]
	v_add_f64 v[12:13], v[12:13], v[16:17]
	v_add_f64 v[2:3], v[116:117], v[2:3]
	v_fma_f64 v[116:117], s[4:5], v[14:15], v[6:7]
	s_mov_b32 s57, 0x3fefdd0d
	s_mov_b32 s36, 0x3259b75e
	v_add_f64 v[118:119], v[36:37], -v[30:31]
	v_fma_f64 v[8:9], v[20:21], s[14:15], -v[8:9]
	v_add_f64 v[10:11], v[10:11], v[12:13]
	v_add_f64 v[2:3], v[116:117], v[2:3]
	;; [unrolled: 1-line block ×3, first 2 shown]
	s_mov_b32 s37, 0x3fb79ee6
	v_mul_f64 v[122:123], v[118:119], s[56:57]
	v_fma_f64 v[6:7], v[14:15], s[4:5], -v[6:7]
	v_add_f64 v[8:9], v[8:9], v[10:11]
	v_fma_f64 v[100:101], v[116:117], s[36:37], -v[122:123]
	v_add_f64 v[6:7], v[6:7], v[8:9]
	v_mul_f64 v[16:17], v[112:113], s[24:25]
	v_add_f64 v[6:7], v[100:101], v[6:7]
	s_mov_b32 s41, 0xbfefdd0d
	s_mov_b32 s40, s56
	v_mul_f64 v[12:13], v[114:115], s[34:35]
	v_fma_f64 v[100:101], s[26:27], v[110:111], v[16:17]
	v_mul_f64 v[10:11], v[108:109], s[40:41]
	v_fma_f64 v[8:9], s[14:15], v[106:107], v[12:13]
	v_add_f64 v[100:101], v[4:5], v[100:101]
	s_mov_b32 s53, 0x3fe9895b
	s_mov_b32 s52, s18
	v_add_f64 v[8:9], v[8:9], v[100:101]
	v_fma_f64 v[100:101], s[36:37], v[102:103], v[10:11]
	v_add_f64 v[8:9], v[100:101], v[8:9]
	v_mul_f64 v[100:101], v[104:105], s[52:53]
	v_fma_f64 v[120:121], s[16:17], v[28:29], v[100:101]
	s_mov_b32 s43, 0xbfd71e95
	s_mov_b32 s42, s38
	v_add_f64 v[8:9], v[120:121], v[8:9]
	v_mul_f64 v[120:121], v[26:27], s[42:43]
	v_fma_f64 v[16:17], v[110:111], s[26:27], -v[16:17]
	v_fma_f64 v[124:125], s[36:37], v[116:117], v[122:123]
	v_fma_f64 v[122:123], s[22:23], v[24:25], v[120:121]
	v_fma_f64 v[12:13], v[106:107], s[14:15], -v[12:13]
	v_add_f64 v[16:17], v[4:5], v[16:17]
	v_add_f64 v[8:9], v[122:123], v[8:9]
	v_mul_f64 v[122:123], v[22:23], s[28:29]
	v_add_f64 v[12:13], v[12:13], v[16:17]
	v_fma_f64 v[10:11], v[102:103], s[36:37], -v[10:11]
	v_add_f64 v[2:3], v[124:125], v[2:3]
	v_fma_f64 v[124:125], s[30:31], v[20:21], v[122:123]
	v_add_f64 v[10:11], v[10:11], v[12:13]
	v_fma_f64 v[12:13], v[28:29], s[16:17], -v[100:101]
	v_add_f64 v[8:9], v[124:125], v[8:9]
	v_mul_f64 v[124:125], v[18:19], s[44:45]
	v_add_f64 v[10:11], v[12:13], v[10:11]
	v_fma_f64 v[12:13], v[24:25], s[22:23], -v[120:121]
	v_fma_f64 v[126:127], s[20:21], v[14:15], v[124:125]
	v_add_f64 v[10:11], v[12:13], v[10:11]
	v_fma_f64 v[100:101], v[20:21], s[30:31], -v[122:123]
	v_add_f64 v[8:9], v[126:127], v[8:9]
	v_mul_f64 v[126:127], v[118:119], s[12:13]
	v_fma_f64 v[16:17], v[14:15], s[20:21], -v[124:125]
	v_add_f64 v[10:11], v[100:101], v[10:11]
	v_fma_f64 v[12:13], v[116:117], s[4:5], -v[126:127]
	v_add_f64 v[10:11], v[16:17], v[10:11]
	s_mov_b32 s49, 0x3feec746
	s_mov_b32 s48, s12
	v_mul_f64 v[100:101], v[112:113], s[18:19]
	v_add_f64 v[10:11], v[12:13], v[10:11]
	v_mul_f64 v[16:17], v[114:115], s[48:49]
	v_fma_f64 v[12:13], s[16:17], v[110:111], v[100:101]
	v_add_f64 v[12:13], v[4:5], v[12:13]
	v_fma_f64 v[120:121], s[4:5], v[106:107], v[16:17]
	v_add_f64 v[12:13], v[120:121], v[12:13]
	v_mul_f64 v[120:121], v[108:109], s[42:43]
	v_fma_f64 v[122:123], s[22:23], v[102:103], v[120:121]
	v_add_f64 v[12:13], v[122:123], v[12:13]
	v_mul_f64 v[122:123], v[104:105], s[24:25]
	;; [unrolled: 3-line block ×3, first 2 shown]
	v_fma_f64 v[100:101], v[110:111], s[16:17], -v[100:101]
	v_fma_f64 v[128:129], s[4:5], v[116:117], v[126:127]
	v_fma_f64 v[126:127], s[36:37], v[24:25], v[124:125]
	s_mov_b32 s47, 0xbfe58eea
	s_mov_b32 s46, s44
	v_fma_f64 v[16:17], v[106:107], s[4:5], -v[16:17]
	v_add_f64 v[100:101], v[4:5], v[100:101]
	v_add_f64 v[12:13], v[126:127], v[12:13]
	v_mul_f64 v[126:127], v[22:23], s[46:47]
	v_add_f64 v[16:17], v[16:17], v[100:101]
	v_fma_f64 v[100:101], v[102:103], s[22:23], -v[120:121]
	v_add_f64 v[8:9], v[128:129], v[8:9]
	v_fma_f64 v[128:129], s[20:21], v[20:21], v[126:127]
	v_add_f64 v[16:17], v[100:101], v[16:17]
	v_fma_f64 v[100:101], v[28:29], s[26:27], -v[122:123]
	v_add_f64 v[12:13], v[128:129], v[12:13]
	v_mul_f64 v[128:129], v[18:19], s[28:29]
	v_add_f64 v[16:17], v[100:101], v[16:17]
	v_fma_f64 v[100:101], v[24:25], s[36:37], -v[124:125]
	v_fma_f64 v[130:131], s[30:31], v[14:15], v[128:129]
	v_add_f64 v[16:17], v[100:101], v[16:17]
	v_fma_f64 v[100:101], v[20:21], s[20:21], -v[126:127]
	v_add_f64 v[12:13], v[130:131], v[12:13]
	v_mul_f64 v[130:131], v[118:119], s[34:35]
	v_add_f64 v[16:17], v[100:101], v[16:17]
	v_fma_f64 v[100:101], v[14:15], s[30:31], -v[128:129]
	v_add_f64 v[16:17], v[100:101], v[16:17]
	v_fma_f64 v[100:101], v[116:117], s[14:15], -v[130:131]
	s_mov_b32 s55, 0x3fe0d888
	s_mov_b32 s54, s24
	v_mul_f64 v[120:121], v[112:113], s[12:13]
	v_add_f64 v[16:17], v[100:101], v[16:17]
	v_fma_f64 v[100:101], s[4:5], v[110:111], v[120:121]
	v_mul_f64 v[122:123], v[114:115], s[54:55]
	v_add_f64 v[100:101], v[4:5], v[100:101]
	v_fma_f64 v[124:125], s[26:27], v[106:107], v[122:123]
	v_add_f64 v[100:101], v[124:125], v[100:101]
	v_mul_f64 v[124:125], v[108:109], s[44:45]
	v_fma_f64 v[126:127], s[20:21], v[102:103], v[124:125]
	s_mov_b32 s51, 0xbfeca52d
	s_mov_b32 s50, s34
	v_add_f64 v[100:101], v[126:127], v[100:101]
	v_mul_f64 v[126:127], v[104:105], s[50:51]
	v_fma_f64 v[128:129], s[14:15], v[28:29], v[126:127]
	v_add_f64 v[100:101], v[128:129], v[100:101]
	v_mul_f64 v[128:129], v[26:27], s[28:29]
	v_fma_f64 v[120:121], v[110:111], s[4:5], -v[120:121]
	v_fma_f64 v[134:135], s[14:15], v[116:117], v[130:131]
	v_fma_f64 v[130:131], s[30:31], v[24:25], v[128:129]
	v_fma_f64 v[122:123], v[106:107], s[26:27], -v[122:123]
	v_add_f64 v[120:121], v[4:5], v[120:121]
	v_add_f64 v[100:101], v[130:131], v[100:101]
	v_mul_f64 v[130:131], v[22:23], s[56:57]
	v_add_f64 v[120:121], v[122:123], v[120:121]
	v_fma_f64 v[122:123], v[102:103], s[20:21], -v[124:125]
	v_add_f64 v[12:13], v[134:135], v[12:13]
	v_fma_f64 v[134:135], s[36:37], v[20:21], v[130:131]
	v_add_f64 v[120:121], v[122:123], v[120:121]
	v_fma_f64 v[122:123], v[28:29], s[14:15], -v[126:127]
	v_add_f64 v[100:101], v[134:135], v[100:101]
	v_mul_f64 v[134:135], v[18:19], s[42:43]
	v_add_f64 v[120:121], v[122:123], v[120:121]
	v_fma_f64 v[122:123], v[24:25], s[30:31], -v[128:129]
	v_fma_f64 v[136:137], s[22:23], v[14:15], v[134:135]
	v_add_f64 v[120:121], v[122:123], v[120:121]
	v_fma_f64 v[122:123], v[20:21], s[36:37], -v[130:131]
	v_add_f64 v[100:101], v[136:137], v[100:101]
	v_mul_f64 v[136:137], v[118:119], s[18:19]
	v_add_f64 v[120:121], v[122:123], v[120:121]
	v_fma_f64 v[122:123], v[14:15], s[22:23], -v[134:135]
	v_add_f64 v[120:121], v[122:123], v[120:121]
	v_fma_f64 v[122:123], v[116:117], s[16:17], -v[136:137]
	v_add_f64 v[124:125], v[122:123], v[120:121]
	v_mul_f64 v[122:123], v[112:113], s[40:41]
	v_fma_f64 v[120:121], s[36:37], v[110:111], v[122:123]
	v_mul_f64 v[126:127], v[114:115], s[28:29]
	v_add_f64 v[120:121], v[4:5], v[120:121]
	v_fma_f64 v[128:129], s[30:31], v[106:107], v[126:127]
	v_add_f64 v[120:121], v[128:129], v[120:121]
	v_mul_f64 v[128:129], v[108:109], s[48:49]
	v_fma_f64 v[130:131], s[4:5], v[102:103], v[128:129]
	v_add_f64 v[120:121], v[130:131], v[120:121]
	v_mul_f64 v[130:131], v[104:105], s[38:39]
	;; [unrolled: 3-line block ×3, first 2 shown]
	v_fma_f64 v[122:123], v[110:111], s[36:37], -v[122:123]
	v_fma_f64 v[138:139], s[16:17], v[116:117], v[136:137]
	v_fma_f64 v[136:137], s[14:15], v[24:25], v[134:135]
	v_fma_f64 v[126:127], v[106:107], s[30:31], -v[126:127]
	v_add_f64 v[122:123], v[4:5], v[122:123]
	v_add_f64 v[120:121], v[136:137], v[120:121]
	v_mul_f64 v[136:137], v[22:23], s[24:25]
	v_add_f64 v[122:123], v[126:127], v[122:123]
	v_fma_f64 v[126:127], v[102:103], s[4:5], -v[128:129]
	v_add_f64 v[100:101], v[138:139], v[100:101]
	v_fma_f64 v[138:139], s[26:27], v[20:21], v[136:137]
	v_add_f64 v[122:123], v[126:127], v[122:123]
	v_fma_f64 v[126:127], v[28:29], s[22:23], -v[130:131]
	v_add_f64 v[120:121], v[138:139], v[120:121]
	v_mul_f64 v[138:139], v[18:19], s[52:53]
	v_add_f64 v[122:123], v[126:127], v[122:123]
	v_fma_f64 v[126:127], v[24:25], s[14:15], -v[134:135]
	v_fma_f64 v[140:141], s[16:17], v[14:15], v[138:139]
	v_add_f64 v[122:123], v[126:127], v[122:123]
	v_fma_f64 v[126:127], v[20:21], s[26:27], -v[136:137]
	v_add_f64 v[120:121], v[140:141], v[120:121]
	v_mul_f64 v[140:141], v[118:119], s[44:45]
	v_add_f64 v[122:123], v[126:127], v[122:123]
	v_fma_f64 v[126:127], v[14:15], s[16:17], -v[138:139]
	v_add_f64 v[122:123], v[126:127], v[122:123]
	v_fma_f64 v[126:127], v[116:117], s[20:21], -v[140:141]
	v_add_f64 v[128:129], v[126:127], v[122:123]
	v_mul_f64 v[126:127], v[112:113], s[50:51]
	v_fma_f64 v[122:123], s[14:15], v[110:111], v[126:127]
	v_mul_f64 v[130:131], v[114:115], s[18:19]
	v_add_f64 v[122:123], v[4:5], v[122:123]
	v_fma_f64 v[134:135], s[16:17], v[106:107], v[130:131]
	s_mov_b32 s53, 0x3fc7851a
	s_mov_b32 s52, s28
	v_add_f64 v[122:123], v[134:135], v[122:123]
	v_mul_f64 v[134:135], v[108:109], s[52:53]
	v_fma_f64 v[136:137], s[30:31], v[102:103], v[134:135]
	v_add_f64 v[122:123], v[136:137], v[122:123]
	v_mul_f64 v[136:137], v[104:105], s[48:49]
	v_fma_f64 v[138:139], s[4:5], v[28:29], v[136:137]
	v_add_f64 v[122:123], v[138:139], v[122:123]
	v_mul_f64 v[138:139], v[26:27], s[44:45]
	v_fma_f64 v[126:127], v[110:111], s[14:15], -v[126:127]
	v_fma_f64 v[142:143], s[20:21], v[116:117], v[140:141]
	v_fma_f64 v[140:141], s[20:21], v[24:25], v[138:139]
	v_fma_f64 v[130:131], v[106:107], s[16:17], -v[130:131]
	v_add_f64 v[126:127], v[4:5], v[126:127]
	v_add_f64 v[122:123], v[140:141], v[122:123]
	v_mul_f64 v[140:141], v[22:23], s[42:43]
	v_add_f64 v[126:127], v[130:131], v[126:127]
	v_fma_f64 v[130:131], v[102:103], s[30:31], -v[134:135]
	v_add_f64 v[120:121], v[142:143], v[120:121]
	v_fma_f64 v[142:143], s[22:23], v[20:21], v[140:141]
	v_add_f64 v[126:127], v[130:131], v[126:127]
	v_fma_f64 v[130:131], v[28:29], s[4:5], -v[136:137]
	v_add_f64 v[122:123], v[142:143], v[122:123]
	v_mul_f64 v[142:143], v[18:19], s[40:41]
	v_add_f64 v[126:127], v[130:131], v[126:127]
	v_fma_f64 v[130:131], v[24:25], s[20:21], -v[138:139]
	v_fma_f64 v[144:145], s[36:37], v[14:15], v[142:143]
	v_add_f64 v[126:127], v[130:131], v[126:127]
	v_fma_f64 v[130:131], v[20:21], s[22:23], -v[140:141]
	v_add_f64 v[122:123], v[144:145], v[122:123]
	v_mul_f64 v[144:145], v[118:119], s[24:25]
	v_add_f64 v[126:127], v[130:131], v[126:127]
	v_fma_f64 v[130:131], v[14:15], s[36:37], -v[142:143]
	v_add_f64 v[126:127], v[130:131], v[126:127]
	v_fma_f64 v[130:131], v[116:117], s[26:27], -v[144:145]
	v_mul_f64 v[134:135], v[112:113], s[46:47]
	v_add_f64 v[130:131], v[130:131], v[126:127]
	v_fma_f64 v[126:127], s[20:21], v[110:111], v[134:135]
	v_mul_f64 v[136:137], v[114:115], s[40:41]
	v_add_f64 v[126:127], v[4:5], v[126:127]
	v_fma_f64 v[138:139], s[36:37], v[106:107], v[136:137]
	v_add_f64 v[126:127], v[138:139], v[126:127]
	v_mul_f64 v[138:139], v[108:109], s[18:19]
	v_fma_f64 v[140:141], s[16:17], v[102:103], v[138:139]
	v_add_f64 v[126:127], v[140:141], v[126:127]
	v_mul_f64 v[140:141], v[104:105], s[28:29]
	;; [unrolled: 3-line block ×3, first 2 shown]
	v_fma_f64 v[134:135], v[110:111], s[20:21], -v[134:135]
	v_fma_f64 v[146:147], s[26:27], v[116:117], v[144:145]
	v_fma_f64 v[144:145], s[26:27], v[24:25], v[142:143]
	v_fma_f64 v[136:137], v[106:107], s[36:37], -v[136:137]
	v_add_f64 v[134:135], v[4:5], v[134:135]
	v_add_f64 v[126:127], v[144:145], v[126:127]
	v_mul_f64 v[144:145], v[22:23], s[48:49]
	v_add_f64 v[134:135], v[136:137], v[134:135]
	v_fma_f64 v[136:137], v[102:103], s[16:17], -v[138:139]
	v_add_f64 v[122:123], v[146:147], v[122:123]
	v_fma_f64 v[146:147], s[4:5], v[20:21], v[144:145]
	v_add_f64 v[134:135], v[136:137], v[134:135]
	v_fma_f64 v[136:137], v[28:29], s[30:31], -v[140:141]
	v_add_f64 v[126:127], v[146:147], v[126:127]
	v_mul_f64 v[146:147], v[18:19], s[34:35]
	v_add_f64 v[134:135], v[136:137], v[134:135]
	v_fma_f64 v[136:137], v[24:25], s[26:27], -v[142:143]
	v_fma_f64 v[148:149], s[14:15], v[14:15], v[146:147]
	v_add_f64 v[134:135], v[136:137], v[134:135]
	v_fma_f64 v[136:137], v[20:21], s[4:5], -v[144:145]
	v_add_f64 v[126:127], v[148:149], v[126:127]
	v_mul_f64 v[148:149], v[118:119], s[38:39]
	v_add_f64 v[134:135], v[136:137], v[134:135]
	v_fma_f64 v[136:137], v[14:15], s[14:15], -v[146:147]
	v_add_f64 v[134:135], v[136:137], v[134:135]
	v_fma_f64 v[136:137], v[116:117], s[22:23], -v[148:149]
	v_mul_f64 v[112:113], v[112:113], s[42:43]
	v_add_f64 v[134:135], v[136:137], v[134:135]
	v_mul_f64 v[114:115], v[114:115], s[46:47]
	v_fma_f64 v[136:137], s[22:23], v[110:111], v[112:113]
	v_add_f64 v[136:137], v[4:5], v[136:137]
	v_fma_f64 v[138:139], s[20:21], v[106:107], v[114:115]
	v_mul_f64 v[108:109], v[108:109], s[50:51]
	v_add_f64 v[136:137], v[138:139], v[136:137]
	v_fma_f64 v[138:139], s[14:15], v[102:103], v[108:109]
	v_mul_f64 v[104:105], v[104:105], s[40:41]
	;; [unrolled: 3-line block ×4, first 2 shown]
	v_add_f64 v[136:137], v[138:139], v[136:137]
	v_fma_f64 v[138:139], s[16:17], v[20:21], v[22:23]
	v_fma_f64 v[20:21], v[20:21], s[16:17], -v[22:23]
	v_fma_f64 v[22:23], v[24:25], s[4:5], -v[26:27]
	;; [unrolled: 1-line block ×4, first 2 shown]
	v_add_f64 v[102:103], v[4:5], v[102:103]
	v_add_f64 v[4:5], v[4:5], v[98:99]
	;; [unrolled: 1-line block ×8, first 2 shown]
	v_fma_f64 v[24:25], v[28:29], s[36:37], -v[104:105]
	v_fma_f64 v[28:29], v[106:107], s[20:21], -v[114:115]
	v_add_f64 v[4:5], v[4:5], v[40:41]
	v_add_f64 v[28:29], v[28:29], v[102:103]
	;; [unrolled: 1-line block ×8, first 2 shown]
	v_mul_f64 v[138:139], v[18:19], s[24:25]
	v_add_f64 v[22:23], v[22:23], v[24:25]
	v_add_f64 v[4:5], v[4:5], v[68:69]
	v_fma_f64 v[18:19], s[26:27], v[14:15], v[138:139]
	v_fma_f64 v[14:15], v[14:15], s[26:27], -v[138:139]
	v_add_f64 v[20:21], v[20:21], v[22:23]
	v_add_f64 v[4:5], v[4:5], v[44:45]
	v_mul_f64 v[118:119], v[118:119], s[28:29]
	v_add_f64 v[14:15], v[14:15], v[20:21]
	v_add_f64 v[4:5], v[4:5], v[78:79]
	v_mov_b32_e32 v21, 3
	v_fma_f64 v[150:151], s[22:23], v[116:117], v[148:149]
	v_add_f64 v[18:19], v[18:19], v[136:137]
	v_fma_f64 v[136:137], s[30:31], v[116:117], v[118:119]
	v_fma_f64 v[116:117], v[116:117], s[30:31], -v[118:119]
	v_add_f64 v[4:5], v[4:5], v[38:39]
	v_mul_u32_u24_e32 v20, 0x198, v83
	v_lshlrev_b32_sdwa v21, v21, v133 dst_sel:DWORD dst_unused:UNUSED_PAD src0_sel:DWORD src1_sel:BYTE_0
	v_add_f64 v[14:15], v[116:117], v[14:15]
	v_add_f64 v[4:5], v[4:5], v[50:51]
	v_add3_u32 v20, 0, v20, v21
	v_add_f64 v[126:127], v[150:151], v[126:127]
	v_add_f64 v[18:19], v[136:137], v[18:19]
	ds_write2_b64 v20, v[4:5], v[14:15] offset1:3
	ds_write2_b64 v20, v[134:135], v[130:131] offset0:6 offset1:9
	ds_write2_b64 v20, v[128:129], v[124:125] offset0:12 offset1:15
	;; [unrolled: 1-line block ×7, first 2 shown]
	ds_write_b64 v20, v[18:19] offset:384
.LBB0_25:
	s_or_b64 exec, exec, s[2:3]
	s_waitcnt lgkmcnt(0)
	; wave barrier
	s_waitcnt lgkmcnt(0)
	ds_read2_b64 v[2:5], v132 offset1:51
	ds_read2_b64 v[26:29], v132 offset0:102 offset1:153
	ds_read2_b64 v[18:21], v132 offset0:204 offset1:255
	v_add_u32_e32 v102, 0x800, v132
	v_add_u32_e32 v103, 0xc00, v132
	;; [unrolled: 1-line block ×3, first 2 shown]
	ds_read2_b64 v[22:25], v102 offset0:50 offset1:101
	ds_read2_b64 v[6:9], v102 offset0:152 offset1:203
	;; [unrolled: 1-line block ×4, first 2 shown]
	s_waitcnt lgkmcnt(0)
	; wave barrier
	s_waitcnt lgkmcnt(0)
	s_and_saveexec_b64 s[2:3], vcc
	s_cbranch_execz .LBB0_27
; %bb.26:
	v_add_f64 v[100:101], v[0:1], v[94:95]
	v_add_f64 v[100:101], v[100:101], v[88:89]
	;; [unrolled: 1-line block ×14, first 2 shown]
	s_mov_b32 s18, 0x5d8e7cdc
	s_mov_b32 s28, 0x2a9d6da3
	s_mov_b32 s44, 0x7c9e640b
	s_mov_b32 s30, 0xeb564b22
	s_mov_b32 s20, 0x923c349f
	s_mov_b32 s24, 0x6c9a05f6
	s_mov_b32 s34, 0x4363dd80
	s_mov_b32 s38, 0xacd6c6b4
	v_add_f64 v[100:101], v[100:101], v[92:93]
	v_add_f64 v[50:51], v[98:99], -v[50:51]
	s_mov_b32 s19, 0xbfd71e95
	s_mov_b32 s4, 0x370991
	;; [unrolled: 1-line block ×16, first 2 shown]
	v_add_f64 v[100:101], v[100:101], v[96:97]
	v_add_f64 v[94:95], v[94:95], v[96:97]
	v_mul_f64 v[96:97], v[50:51], s[18:19]
	s_mov_b32 s5, 0x3fedd6d0
	v_mul_f64 v[106:107], v[50:51], s[28:29]
	s_mov_b32 s13, 0x3fe7a5f6
	v_mul_f64 v[110:111], v[50:51], s[44:45]
	s_mov_b32 s15, 0x3fdc86fa
	v_mul_f64 v[114:115], v[50:51], s[30:31]
	s_mov_b32 s17, 0x3fb79ee6
	v_mul_f64 v[118:119], v[50:51], s[20:21]
	s_mov_b32 s23, 0xbfd183b1
	v_mul_f64 v[122:123], v[50:51], s[24:25]
	s_mov_b32 s27, 0xbfe348c8
	v_mul_f64 v[126:127], v[50:51], s[34:35]
	s_mov_b32 s37, 0xbfeb34fa
	v_mul_f64 v[50:51], v[50:51], s[38:39]
	s_mov_b32 s41, 0xbfef7484
	v_fma_f64 v[98:99], s[4:5], v[94:95], v[96:97]
	v_fma_f64 v[96:97], v[94:95], s[4:5], -v[96:97]
	v_fma_f64 v[108:109], s[12:13], v[94:95], v[106:107]
	v_fma_f64 v[106:107], v[94:95], s[12:13], -v[106:107]
	;; [unrolled: 2-line block ×8, first 2 shown]
	v_add_f64 v[38:39], v[90:91], -v[38:39]
	v_add_f64 v[98:99], v[0:1], v[98:99]
	v_add_f64 v[96:97], v[0:1], v[96:97]
	;; [unrolled: 1-line block ×17, first 2 shown]
	v_mul_f64 v[88:89], v[38:39], s[28:29]
	v_fma_f64 v[90:91], s[12:13], v[50:51], v[88:89]
	v_fma_f64 v[88:89], v[50:51], s[12:13], -v[88:89]
	v_mul_f64 v[92:93], v[38:39], s[30:31]
	v_add_f64 v[88:89], v[88:89], v[96:97]
	v_fma_f64 v[94:95], s[16:17], v[50:51], v[92:93]
	v_fma_f64 v[92:93], v[50:51], s[16:17], -v[92:93]
	v_mul_f64 v[96:97], v[38:39], s[24:25]
	v_add_f64 v[90:91], v[90:91], v[98:99]
	v_add_f64 v[92:93], v[92:93], v[106:107]
	v_fma_f64 v[98:99], s[26:27], v[50:51], v[96:97]
	v_fma_f64 v[96:97], v[50:51], s[26:27], -v[96:97]
	v_mul_f64 v[106:107], v[38:39], s[38:39]
	s_mov_b32 s53, 0x3fe0d888
	s_mov_b32 s52, s34
	v_add_f64 v[94:95], v[94:95], v[108:109]
	v_add_f64 v[96:97], v[96:97], v[110:111]
	v_fma_f64 v[108:109], s[40:41], v[50:51], v[106:107]
	v_fma_f64 v[106:107], v[50:51], s[40:41], -v[106:107]
	v_mul_f64 v[110:111], v[38:39], s[52:53]
	s_mov_b32 s51, 0x3feec746
	s_mov_b32 s50, s20
	;; [unrolled: 7-line block ×3, first 2 shown]
	s_mov_b32 s47, 0x3fd71e95
	s_mov_b32 s46, s18
	v_add_f64 v[108:109], v[108:109], v[116:117]
	v_add_f64 v[110:111], v[110:111], v[118:119]
	v_fma_f64 v[116:117], s[22:23], v[50:51], v[114:115]
	v_fma_f64 v[114:115], v[50:51], s[22:23], -v[114:115]
	v_mul_f64 v[118:119], v[38:39], s[42:43]
	v_mul_f64 v[38:39], v[38:39], s[46:47]
	v_add_f64 v[112:113], v[112:113], v[120:121]
	v_add_f64 v[114:115], v[114:115], v[122:123]
	v_fma_f64 v[120:121], s[14:15], v[50:51], v[118:119]
	v_fma_f64 v[118:119], v[50:51], s[14:15], -v[118:119]
	v_fma_f64 v[122:123], s[4:5], v[50:51], v[38:39]
	v_fma_f64 v[38:39], v[50:51], s[4:5], -v[38:39]
	v_add_f64 v[50:51], v[86:87], -v[78:79]
	v_add_f64 v[0:1], v[38:39], v[0:1]
	v_add_f64 v[38:39], v[76:77], v[74:75]
	v_mul_f64 v[74:75], v[50:51], s[44:45]
	v_fma_f64 v[76:77], s[14:15], v[38:39], v[74:75]
	v_fma_f64 v[74:75], v[38:39], s[14:15], -v[74:75]
	v_mul_f64 v[78:79], v[50:51], s[24:25]
	s_mov_b32 s49, 0x3fc7851a
	s_mov_b32 s48, s38
	v_add_f64 v[74:75], v[74:75], v[88:89]
	v_fma_f64 v[86:87], s[26:27], v[38:39], v[78:79]
	v_fma_f64 v[78:79], v[38:39], s[26:27], -v[78:79]
	v_mul_f64 v[88:89], v[50:51], s[48:49]
	v_add_f64 v[76:77], v[76:77], v[90:91]
	v_add_f64 v[78:79], v[78:79], v[92:93]
	v_fma_f64 v[90:91], s[40:41], v[38:39], v[88:89]
	v_fma_f64 v[88:89], v[38:39], s[40:41], -v[88:89]
	v_mul_f64 v[92:93], v[50:51], s[50:51]
	s_mov_b32 s49, 0x3fe58eea
	s_mov_b32 s48, s28
	v_add_f64 v[86:87], v[86:87], v[94:95]
	v_add_f64 v[88:89], v[88:89], v[96:97]
	v_fma_f64 v[94:95], s[22:23], v[38:39], v[92:93]
	v_fma_f64 v[92:93], v[38:39], s[22:23], -v[92:93]
	v_mul_f64 v[96:97], v[50:51], s[48:49]
	v_add_f64 v[90:91], v[90:91], v[98:99]
	v_add_f64 v[92:93], v[92:93], v[106:107]
	v_fma_f64 v[98:99], s[12:13], v[38:39], v[96:97]
	v_fma_f64 v[96:97], v[38:39], s[12:13], -v[96:97]
	v_mul_f64 v[106:107], v[50:51], s[18:19]
	;; [unrolled: 5-line block ×3, first 2 shown]
	v_mul_f64 v[50:51], v[50:51], s[34:35]
	v_add_f64 v[98:99], v[98:99], v[112:113]
	v_add_f64 v[106:107], v[106:107], v[114:115]
	v_fma_f64 v[112:113], s[16:17], v[38:39], v[110:111]
	v_fma_f64 v[110:111], v[38:39], s[16:17], -v[110:111]
	v_fma_f64 v[114:115], s[36:37], v[38:39], v[50:51]
	v_fma_f64 v[38:39], v[38:39], s[36:37], -v[50:51]
	v_add_f64 v[44:45], v[46:47], -v[44:45]
	v_add_f64 v[0:1], v[38:39], v[0:1]
	v_add_f64 v[38:39], v[72:73], v[70:71]
	v_mul_f64 v[46:47], v[44:45], s[30:31]
	v_fma_f64 v[50:51], s[16:17], v[38:39], v[46:47]
	v_fma_f64 v[46:47], v[38:39], s[16:17], -v[46:47]
	v_mul_f64 v[70:71], v[44:45], s[38:39]
	v_add_f64 v[46:47], v[46:47], v[74:75]
	v_fma_f64 v[72:73], s[40:41], v[38:39], v[70:71]
	v_fma_f64 v[70:71], v[38:39], s[40:41], -v[70:71]
	v_mul_f64 v[74:75], v[44:45], s[50:51]
	v_add_f64 v[50:51], v[50:51], v[76:77]
	v_add_f64 v[70:71], v[70:71], v[78:79]
	v_fma_f64 v[76:77], s[22:23], v[38:39], v[74:75]
	v_fma_f64 v[74:75], v[38:39], s[22:23], -v[74:75]
	v_mul_f64 v[78:79], v[44:45], s[46:47]
	v_add_f64 v[72:73], v[72:73], v[86:87]
	;; [unrolled: 5-line block ×3, first 2 shown]
	v_add_f64 v[78:79], v[78:79], v[92:93]
	v_fma_f64 v[90:91], s[14:15], v[38:39], v[88:89]
	v_fma_f64 v[88:89], v[38:39], s[14:15], -v[88:89]
	v_mul_f64 v[92:93], v[44:45], s[34:35]
	s_mov_b32 s55, 0x3fe9895b
	s_mov_b32 s54, s24
	v_add_f64 v[86:87], v[86:87], v[94:95]
	v_add_f64 v[88:89], v[88:89], v[96:97]
	v_fma_f64 v[94:95], s[36:37], v[38:39], v[92:93]
	v_fma_f64 v[92:93], v[38:39], s[36:37], -v[92:93]
	v_mul_f64 v[96:97], v[44:45], s[54:55]
	v_mul_f64 v[44:45], v[44:45], s[48:49]
	v_add_f64 v[90:91], v[90:91], v[98:99]
	v_add_f64 v[92:93], v[92:93], v[106:107]
	v_fma_f64 v[98:99], s[26:27], v[38:39], v[96:97]
	v_fma_f64 v[96:97], v[38:39], s[26:27], -v[96:97]
	v_fma_f64 v[106:107], s[12:13], v[38:39], v[44:45]
	v_fma_f64 v[38:39], v[38:39], s[12:13], -v[44:45]
	v_add_f64 v[44:45], v[66:67], -v[68:69]
	v_add_f64 v[0:1], v[38:39], v[0:1]
	v_add_f64 v[38:39], v[62:63], v[64:65]
	v_mul_f64 v[62:63], v[44:45], s[20:21]
	v_fma_f64 v[64:65], s[22:23], v[38:39], v[62:63]
	v_fma_f64 v[62:63], v[38:39], s[22:23], -v[62:63]
	v_add_f64 v[46:47], v[62:63], v[46:47]
	v_mul_f64 v[62:63], v[44:45], s[52:53]
	v_add_f64 v[50:51], v[64:65], v[50:51]
	v_fma_f64 v[64:65], s[36:37], v[38:39], v[62:63]
	v_fma_f64 v[62:63], v[38:39], s[36:37], -v[62:63]
	v_mul_f64 v[66:67], v[44:45], s[48:49]
	v_add_f64 v[62:63], v[62:63], v[70:71]
	v_fma_f64 v[68:69], s[12:13], v[38:39], v[66:67]
	v_fma_f64 v[66:67], v[38:39], s[12:13], -v[66:67]
	v_mul_f64 v[70:71], v[44:45], s[44:45]
	v_add_f64 v[64:65], v[64:65], v[72:73]
	v_add_f64 v[66:67], v[66:67], v[74:75]
	v_fma_f64 v[72:73], s[14:15], v[38:39], v[70:71]
	v_fma_f64 v[70:71], v[38:39], s[14:15], -v[70:71]
	v_mul_f64 v[74:75], v[44:45], s[38:39]
	s_mov_b32 s45, 0x3fefdd0d
	s_mov_b32 s44, s30
	v_add_f64 v[68:69], v[68:69], v[76:77]
	v_add_f64 v[70:71], v[70:71], v[78:79]
	v_fma_f64 v[76:77], s[40:41], v[38:39], v[74:75]
	v_fma_f64 v[74:75], v[38:39], s[40:41], -v[74:75]
	v_mul_f64 v[78:79], v[44:45], s[44:45]
	v_add_f64 v[72:73], v[72:73], v[86:87]
	v_add_f64 v[74:75], v[74:75], v[88:89]
	v_fma_f64 v[86:87], s[16:17], v[38:39], v[78:79]
	v_fma_f64 v[78:79], v[38:39], s[16:17], -v[78:79]
	v_mul_f64 v[88:89], v[44:45], s[18:19]
	v_mul_f64 v[44:45], v[44:45], s[24:25]
	v_add_f64 v[76:77], v[76:77], v[90:91]
	v_add_f64 v[78:79], v[78:79], v[92:93]
	v_fma_f64 v[90:91], s[4:5], v[38:39], v[88:89]
	v_fma_f64 v[88:89], v[38:39], s[4:5], -v[88:89]
	v_fma_f64 v[92:93], s[26:27], v[38:39], v[44:45]
	v_fma_f64 v[38:39], v[38:39], s[26:27], -v[44:45]
	v_add_f64 v[44:45], v[58:59], -v[60:61]
	v_add_f64 v[0:1], v[38:39], v[0:1]
	v_add_f64 v[38:39], v[54:55], v[56:57]
	v_mul_f64 v[54:55], v[44:45], s[24:25]
	v_fma_f64 v[56:57], s[26:27], v[38:39], v[54:55]
	v_fma_f64 v[54:55], v[38:39], s[26:27], -v[54:55]
	v_add_f64 v[46:47], v[54:55], v[46:47]
	v_mul_f64 v[54:55], v[44:45], s[50:51]
	v_add_f64 v[50:51], v[56:57], v[50:51]
	v_fma_f64 v[56:57], s[22:23], v[38:39], v[54:55]
	v_fma_f64 v[54:55], v[38:39], s[22:23], -v[54:55]
	v_mul_f64 v[58:59], v[44:45], s[18:19]
	v_add_f64 v[54:55], v[54:55], v[62:63]
	v_fma_f64 v[60:61], s[4:5], v[38:39], v[58:59]
	v_fma_f64 v[58:59], v[38:39], s[4:5], -v[58:59]
	v_mul_f64 v[62:63], v[44:45], s[34:35]
	v_add_f64 v[56:57], v[56:57], v[64:65]
	v_add_f64 v[58:59], v[58:59], v[66:67]
	v_fma_f64 v[64:65], s[36:37], v[38:39], v[62:63]
	v_fma_f64 v[62:63], v[38:39], s[36:37], -v[62:63]
	v_mul_f64 v[66:67], v[44:45], s[44:45]
	v_add_f64 v[60:61], v[60:61], v[68:69]
	;; [unrolled: 5-line block ×3, first 2 shown]
	v_add_f64 v[66:67], v[66:67], v[74:75]
	v_fma_f64 v[72:73], s[12:13], v[38:39], v[70:71]
	v_fma_f64 v[70:71], v[38:39], s[12:13], -v[70:71]
	v_mul_f64 v[74:75], v[44:45], s[38:39]
	v_mul_f64 v[44:45], v[44:45], s[42:43]
	v_add_f64 v[68:69], v[68:69], v[76:77]
	v_add_f64 v[70:71], v[70:71], v[78:79]
	v_fma_f64 v[76:77], s[40:41], v[38:39], v[74:75]
	v_fma_f64 v[74:75], v[38:39], s[40:41], -v[74:75]
	v_fma_f64 v[78:79], s[14:15], v[38:39], v[44:45]
	v_fma_f64 v[38:39], v[38:39], s[14:15], -v[44:45]
	v_add_f64 v[34:35], v[52:53], -v[34:35]
	v_add_f64 v[0:1], v[38:39], v[0:1]
	v_add_f64 v[38:39], v[48:49], v[42:43]
	v_mul_f64 v[42:43], v[34:35], s[34:35]
	v_fma_f64 v[44:45], s[36:37], v[38:39], v[42:43]
	v_fma_f64 v[42:43], v[38:39], s[36:37], -v[42:43]
	v_add_f64 v[42:43], v[42:43], v[46:47]
	v_mul_f64 v[46:47], v[34:35], s[42:43]
	v_add_f64 v[44:45], v[44:45], v[50:51]
	v_fma_f64 v[48:49], s[14:15], v[38:39], v[46:47]
	v_fma_f64 v[46:47], v[38:39], s[14:15], -v[46:47]
	v_mul_f64 v[50:51], v[34:35], s[30:31]
	v_add_f64 v[46:47], v[46:47], v[54:55]
	v_fma_f64 v[52:53], s[16:17], v[38:39], v[50:51]
	v_fma_f64 v[50:51], v[38:39], s[16:17], -v[50:51]
	v_mul_f64 v[54:55], v[34:35], s[54:55]
	v_add_f64 v[48:49], v[48:49], v[56:57]
	v_add_f64 v[50:51], v[50:51], v[58:59]
	v_fma_f64 v[56:57], s[26:27], v[38:39], v[54:55]
	v_fma_f64 v[54:55], v[38:39], s[26:27], -v[54:55]
	v_mul_f64 v[58:59], v[34:35], s[18:19]
	v_add_f64 v[52:53], v[52:53], v[60:61]
	v_add_f64 v[54:55], v[54:55], v[62:63]
	v_fma_f64 v[60:61], s[4:5], v[38:39], v[58:59]
	v_fma_f64 v[58:59], v[38:39], s[4:5], -v[58:59]
	v_mul_f64 v[62:63], v[34:35], s[38:39]
	v_add_f64 v[56:57], v[56:57], v[64:65]
	v_add_f64 v[58:59], v[58:59], v[66:67]
	v_fma_f64 v[64:65], s[40:41], v[38:39], v[62:63]
	v_fma_f64 v[62:63], v[38:39], s[40:41], -v[62:63]
	v_mul_f64 v[66:67], v[34:35], s[48:49]
	v_mul_f64 v[34:35], v[34:35], s[20:21]
	v_add_f64 v[62:63], v[62:63], v[70:71]
	v_fma_f64 v[70:71], s[22:23], v[38:39], v[34:35]
	v_fma_f64 v[34:35], v[38:39], s[22:23], -v[34:35]
	v_add_f64 v[32:33], v[40:41], -v[32:33]
	v_add_f64 v[0:1], v[34:35], v[0:1]
	v_add_f64 v[30:31], v[36:37], v[30:31]
	v_mul_f64 v[34:35], v[32:33], s[38:39]
	v_add_f64 v[60:61], v[60:61], v[68:69]
	v_fma_f64 v[68:69], s[12:13], v[38:39], v[66:67]
	v_fma_f64 v[66:67], v[38:39], s[12:13], -v[66:67]
	v_fma_f64 v[36:37], s[40:41], v[30:31], v[34:35]
	v_fma_f64 v[34:35], v[30:31], s[40:41], -v[34:35]
	v_mul_f64 v[38:39], v[32:33], s[46:47]
	v_add_f64 v[34:35], v[34:35], v[42:43]
	v_fma_f64 v[40:41], s[4:5], v[30:31], v[38:39]
	v_fma_f64 v[38:39], v[30:31], s[4:5], -v[38:39]
	v_mul_f64 v[42:43], v[32:33], s[34:35]
	v_add_f64 v[36:37], v[36:37], v[44:45]
	v_add_f64 v[38:39], v[38:39], v[46:47]
	v_fma_f64 v[44:45], s[36:37], v[30:31], v[42:43]
	v_fma_f64 v[42:43], v[30:31], s[36:37], -v[42:43]
	v_mul_f64 v[46:47], v[32:33], s[48:49]
	v_add_f64 v[40:41], v[40:41], v[48:49]
	;; [unrolled: 5-line block ×3, first 2 shown]
	v_add_f64 v[120:121], v[120:121], v[128:129]
	v_add_f64 v[118:119], v[118:119], v[126:127]
	;; [unrolled: 1-line block ×5, first 2 shown]
	v_fma_f64 v[52:53], s[26:27], v[30:31], v[50:51]
	v_fma_f64 v[50:51], v[30:31], s[26:27], -v[50:51]
	v_mul_f64 v[54:55], v[32:33], s[42:43]
	v_add_f64 v[108:109], v[108:109], v[116:117]
	v_add_f64 v[112:113], v[112:113], v[120:121]
	;; [unrolled: 1-line block ×6, first 2 shown]
	v_fma_f64 v[56:57], s[14:15], v[30:31], v[54:55]
	v_fma_f64 v[54:55], v[30:31], s[14:15], -v[54:55]
	v_mul_f64 v[58:59], v[32:33], s[20:21]
	v_mul_f64 v[32:33], v[32:33], s[44:45]
	v_add_f64 v[94:95], v[94:95], v[108:109]
	v_add_f64 v[98:99], v[98:99], v[112:113]
	;; [unrolled: 1-line block ×6, first 2 shown]
	v_fma_f64 v[60:61], s[22:23], v[30:31], v[58:59]
	v_fma_f64 v[58:59], v[30:31], s[22:23], -v[58:59]
	v_fma_f64 v[62:63], s[16:17], v[30:31], v[32:33]
	v_fma_f64 v[30:31], v[30:31], s[16:17], -v[32:33]
	v_add_f64 v[86:87], v[86:87], v[94:95]
	v_add_f64 v[90:91], v[90:91], v[98:99]
	;; [unrolled: 1-line block ×5, first 2 shown]
	v_mov_b32_e32 v31, 3
	v_add_f64 v[72:73], v[72:73], v[86:87]
	v_add_f64 v[76:77], v[76:77], v[90:91]
	;; [unrolled: 1-line block ×4, first 2 shown]
	v_mul_u32_u24_e32 v30, 0x198, v83
	v_lshlrev_b32_sdwa v31, v31, v133 dst_sel:DWORD dst_unused:UNUSED_PAD src0_sel:DWORD src1_sel:BYTE_0
	v_add_f64 v[64:65], v[64:65], v[72:73]
	v_add_f64 v[68:69], v[68:69], v[76:77]
	;; [unrolled: 1-line block ×4, first 2 shown]
	v_add3_u32 v30, 0, v30, v31
	v_add_f64 v[56:57], v[56:57], v[64:65]
	v_add_f64 v[60:61], v[60:61], v[68:69]
	;; [unrolled: 1-line block ×4, first 2 shown]
	ds_write2_b64 v30, v[100:101], v[36:37] offset1:3
	ds_write2_b64 v30, v[40:41], v[44:45] offset0:6 offset1:9
	ds_write2_b64 v30, v[48:49], v[52:53] offset0:12 offset1:15
	;; [unrolled: 1-line block ×7, first 2 shown]
	ds_write_b64 v30, v[34:35] offset:384
.LBB0_27:
	s_or_b64 exec, exec, s[2:3]
	v_mul_u32_u24_e32 v0, 6, v82
	v_lshlrev_b32_e32 v0, 4, v0
	s_waitcnt lgkmcnt(0)
	; wave barrier
	s_waitcnt lgkmcnt(0)
	global_load_dwordx4 v[34:37], v0, s[8:9] offset:768
	global_load_dwordx4 v[38:41], v0, s[8:9] offset:784
	;; [unrolled: 1-line block ×6, first 2 shown]
	ds_read2_b64 v[30:33], v132 offset1:51
	ds_read2_b64 v[58:61], v132 offset0:102 offset1:153
	ds_read2_b64 v[62:65], v132 offset0:204 offset1:255
	;; [unrolled: 1-line block ×6, first 2 shown]
	s_mov_b32 s4, 0x37e14327
	s_mov_b32 s2, 0x36b3c0b5
	;; [unrolled: 1-line block ×20, first 2 shown]
	s_waitcnt lgkmcnt(0)
	; wave barrier
	s_waitcnt vmcnt(5) lgkmcnt(0)
	v_mul_f64 v[0:1], v[58:59], v[36:37]
	v_mul_f64 v[78:79], v[26:27], v[36:37]
	s_waitcnt vmcnt(4)
	v_mul_f64 v[90:91], v[62:63], v[40:41]
	v_mul_f64 v[92:93], v[18:19], v[40:41]
	s_waitcnt vmcnt(1)
	;; [unrolled: 3-line block ×3, first 2 shown]
	v_mul_f64 v[110:111], v[86:87], v[56:57]
	v_mul_f64 v[112:113], v[14:15], v[56:57]
	;; [unrolled: 1-line block ×12, first 2 shown]
	v_fma_f64 v[0:1], v[26:27], v[34:35], -v[0:1]
	v_fmac_f64_e32 v[78:79], v[58:59], v[34:35]
	v_fma_f64 v[18:19], v[18:19], v[38:39], -v[90:91]
	v_fmac_f64_e32 v[92:93], v[62:63], v[38:39]
	;; [unrolled: 2-line block ×4, first 2 shown]
	v_mul_f64 v[120:121], v[72:73], v[48:49]
	v_mul_f64 v[48:49], v[8:9], v[48:49]
	v_mul_f64 v[122:123], v[76:77], v[52:53]
	v_mul_f64 v[52:53], v[12:13], v[52:53]
	v_mul_f64 v[124:125], v[88:89], v[56:57]
	v_mul_f64 v[56:57], v[16:17], v[56:57]
	v_fma_f64 v[22:23], v[22:23], v[42:43], -v[94:95]
	v_fmac_f64_e32 v[96:97], v[66:67], v[42:43]
	v_fma_f64 v[6:7], v[6:7], v[46:47], -v[98:99]
	v_fmac_f64_e32 v[100:101], v[70:71], v[46:47]
	;; [unrolled: 2-line block ×5, first 2 shown]
	v_add_f64 v[28:29], v[0:1], v[14:15]
	v_add_f64 v[34:35], v[78:79], v[112:113]
	;; [unrolled: 1-line block ×4, first 2 shown]
	v_fma_f64 v[8:9], v[8:9], v[46:47], -v[120:121]
	v_fmac_f64_e32 v[48:49], v[72:73], v[46:47]
	v_fma_f64 v[12:13], v[12:13], v[50:51], -v[122:123]
	v_fmac_f64_e32 v[52:53], v[76:77], v[50:51]
	;; [unrolled: 2-line block ×3, first 2 shown]
	v_add_f64 v[0:1], v[0:1], -v[14:15]
	v_add_f64 v[14:15], v[78:79], -v[112:113]
	;; [unrolled: 1-line block ×4, first 2 shown]
	v_add_f64 v[46:47], v[22:23], v[6:7]
	v_add_f64 v[50:51], v[96:97], v[100:101]
	v_add_f64 v[6:7], v[6:7], -v[22:23]
	v_add_f64 v[22:23], v[100:101], -v[96:97]
	v_add_f64 v[54:55], v[38:39], v[28:29]
	v_add_f64 v[58:59], v[42:43], v[34:35]
	v_add_f64 v[60:61], v[38:39], -v[28:29]
	v_add_f64 v[62:63], v[42:43], -v[34:35]
	;; [unrolled: 1-line block ×6, first 2 shown]
	v_add_f64 v[64:65], v[6:7], v[10:11]
	v_add_f64 v[66:67], v[22:23], v[18:19]
	v_add_f64 v[68:69], v[6:7], -v[10:11]
	v_add_f64 v[70:71], v[22:23], -v[18:19]
	;; [unrolled: 1-line block ×4, first 2 shown]
	v_add_f64 v[46:47], v[46:47], v[54:55]
	v_add_f64 v[50:51], v[50:51], v[58:59]
	v_add_f64 v[6:7], v[0:1], -v[6:7]
	v_add_f64 v[22:23], v[14:15], -v[22:23]
	v_add_f64 v[0:1], v[64:65], v[0:1]
	v_add_f64 v[14:15], v[66:67], v[14:15]
	;; [unrolled: 1-line block ×4, first 2 shown]
	v_mul_f64 v[28:29], v[28:29], s[4:5]
	v_mul_f64 v[34:35], v[34:35], s[4:5]
	;; [unrolled: 1-line block ×8, first 2 shown]
	v_fma_f64 v[46:47], s[16:17], v[46:47], v[2:3]
	v_fma_f64 v[50:51], s[16:17], v[50:51], v[30:31]
	v_fma_f64 v[54:55], v[60:61], s[18:19], -v[54:55]
	v_fma_f64 v[58:59], v[62:63], s[18:19], -v[58:59]
	;; [unrolled: 1-line block ×3, first 2 shown]
	v_fmac_f64_e32 v[28:29], s[2:3], v[38:39]
	v_fma_f64 v[38:39], v[62:63], s[20:21], -v[34:35]
	v_fmac_f64_e32 v[34:35], s[2:3], v[42:43]
	v_fma_f64 v[10:11], v[10:11], s[12:13], -v[64:65]
	;; [unrolled: 2-line block ×4, first 2 shown]
	v_fma_f64 v[22:23], v[22:23], s[26:27], -v[70:71]
	v_add_f64 v[28:29], v[28:29], v[46:47]
	v_add_f64 v[34:35], v[34:35], v[50:51]
	;; [unrolled: 1-line block ×6, first 2 shown]
	v_fmac_f64_e32 v[64:65], s[24:25], v[0:1]
	v_fmac_f64_e32 v[66:67], s[24:25], v[14:15]
	;; [unrolled: 1-line block ×6, first 2 shown]
	v_add_f64 v[0:1], v[66:67], v[28:29]
	v_add_f64 v[50:51], v[34:35], -v[64:65]
	v_add_f64 v[14:15], v[22:23], v[46:47]
	v_add_f64 v[58:59], v[38:39], -v[6:7]
	v_add_f64 v[60:61], v[42:43], -v[18:19]
	v_add_f64 v[62:63], v[10:11], v[54:55]
	v_add_f64 v[18:19], v[18:19], v[42:43]
	v_add_f64 v[42:43], v[54:55], -v[10:11]
	v_add_f64 v[10:11], v[46:47], -v[22:23]
	v_add_f64 v[38:39], v[6:7], v[38:39]
	v_add_f64 v[6:7], v[28:29], -v[66:67]
	v_add_f64 v[28:29], v[64:65], v[34:35]
	v_add_f64 v[22:23], v[26:27], v[16:17]
	;; [unrolled: 1-line block ×3, first 2 shown]
	v_add_f64 v[16:17], v[26:27], -v[16:17]
	v_add_f64 v[26:27], v[36:37], -v[56:57]
	v_add_f64 v[36:37], v[20:21], v[12:13]
	v_add_f64 v[46:47], v[40:41], v[52:53]
	v_add_f64 v[12:13], v[20:21], -v[12:13]
	v_add_f64 v[20:21], v[40:41], -v[52:53]
	v_add_f64 v[40:41], v[24:25], v[8:9]
	v_add_f64 v[52:53], v[44:45], v[48:49]
	;; [unrolled: 4-line block ×3, first 2 shown]
	v_add_f64 v[54:55], v[36:37], -v[22:23]
	v_add_f64 v[56:57], v[46:47], -v[34:35]
	;; [unrolled: 1-line block ×6, first 2 shown]
	v_add_f64 v[64:65], v[8:9], v[12:13]
	v_add_f64 v[66:67], v[24:25], v[20:21]
	v_add_f64 v[68:69], v[8:9], -v[12:13]
	v_add_f64 v[70:71], v[24:25], -v[20:21]
	;; [unrolled: 1-line block ×4, first 2 shown]
	v_add_f64 v[40:41], v[40:41], v[44:45]
	v_add_f64 v[44:45], v[52:53], v[48:49]
	v_add_f64 v[8:9], v[16:17], -v[8:9]
	v_add_f64 v[24:25], v[26:27], -v[24:25]
	v_add_f64 v[16:17], v[64:65], v[16:17]
	v_add_f64 v[26:27], v[66:67], v[26:27]
	;; [unrolled: 1-line block ×4, first 2 shown]
	v_mul_f64 v[22:23], v[22:23], s[4:5]
	v_mul_f64 v[34:35], v[34:35], s[4:5]
	;; [unrolled: 1-line block ×8, first 2 shown]
	v_fma_f64 v[40:41], s[16:17], v[40:41], v[4:5]
	v_fma_f64 v[44:45], s[16:17], v[44:45], v[32:33]
	;; [unrolled: 1-line block ×3, first 2 shown]
	v_fma_f64 v[48:49], v[54:55], s[18:19], -v[48:49]
	v_fma_f64 v[52:53], v[56:57], s[18:19], -v[52:53]
	v_fma_f64 v[22:23], v[54:55], s[20:21], -v[22:23]
	v_fma_f64 v[54:55], v[56:57], s[20:21], -v[34:35]
	v_fmac_f64_e32 v[34:35], s[2:3], v[46:47]
	v_fma_f64 v[46:47], s[22:23], v[8:9], v[64:65]
	v_fma_f64 v[12:13], v[12:13], s[12:13], -v[64:65]
	v_fma_f64 v[20:21], v[20:21], s[12:13], -v[66:67]
	v_fmac_f64_e32 v[66:67], s[22:23], v[24:25]
	v_fma_f64 v[8:9], v[8:9], s[26:27], -v[68:69]
	v_fma_f64 v[24:25], v[24:25], s[26:27], -v[70:71]
	v_add_f64 v[36:37], v[36:37], v[40:41]
	v_add_f64 v[48:49], v[48:49], v[40:41]
	;; [unrolled: 1-line block ×5, first 2 shown]
	v_fmac_f64_e32 v[66:67], s[24:25], v[26:27]
	v_fmac_f64_e32 v[12:13], s[24:25], v[16:17]
	;; [unrolled: 1-line block ×6, first 2 shown]
	v_add_f64 v[16:17], v[66:67], v[36:37]
	v_add_f64 v[26:27], v[24:25], v[22:23]
	v_add_f64 v[54:55], v[40:41], -v[8:9]
	v_add_f64 v[56:57], v[48:49], -v[20:21]
	v_add_f64 v[64:65], v[12:13], v[52:53]
	v_add_f64 v[20:21], v[20:21], v[48:49]
	v_add_f64 v[48:49], v[52:53], -v[12:13]
	v_add_f64 v[12:13], v[22:23], -v[24:25]
	v_add_f64 v[40:41], v[8:9], v[40:41]
	v_add_f64 v[8:9], v[36:37], -v[66:67]
	ds_write2_b64 v132, v[2:3], v[0:1] offset1:51
	ds_write2_b64 v132, v[14:15], v[60:61] offset0:102 offset1:153
	ds_write2_b64 v132, v[18:19], v[10:11] offset0:204 offset1:255
	;; [unrolled: 1-line block ×6, first 2 shown]
	s_waitcnt lgkmcnt(0)
	; wave barrier
	s_waitcnt lgkmcnt(0)
	ds_read2_b64 v[0:3], v132 offset1:51
	ds_read2_b64 v[4:7], v102 offset0:50 offset1:101
	ds_read2_b64 v[16:19], v102 offset0:152 offset1:203
	;; [unrolled: 1-line block ×6, first 2 shown]
	v_add_f64 v[34:35], v[34:35], v[44:45]
	v_add_f64 v[44:45], v[34:35], -v[46:47]
	v_add_f64 v[34:35], v[46:47], v[34:35]
	s_waitcnt lgkmcnt(0)
	; wave barrier
	s_waitcnt lgkmcnt(0)
	ds_write2_b64 v132, v[30:31], v[50:51] offset1:51
	ds_write2_b64 v132, v[58:59], v[62:63] offset0:102 offset1:153
	ds_write2_b64 v132, v[42:43], v[38:39] offset0:204 offset1:255
	;; [unrolled: 1-line block ×6, first 2 shown]
	s_waitcnt lgkmcnt(0)
	; wave barrier
	s_waitcnt lgkmcnt(0)
	s_and_saveexec_b64 s[2:3], s[0:1]
	s_cbranch_execz .LBB0_29
; %bb.28:
	v_add_u32_e32 v28, 0x132, v82
	v_mov_b32_e32 v29, 0
	v_lshl_add_u64 v[30:31], v[28:29], 4, s[8:9]
	v_add_co_u32_e32 v42, vcc, 0x1000, v30
	v_mov_b32_e32 v83, v29
	s_nop 0
	v_addc_co_u32_e32 v43, vcc, 0, v31, vcc
	v_lshl_add_u64 v[44:45], v[82:83], 4, s[8:9]
	s_movk_i32 s1, 0x2000
	v_add_co_u32_e32 v46, vcc, s1, v44
	s_movk_i32 s0, 0x1000
	s_nop 0
	v_addc_co_u32_e32 v47, vcc, 0, v45, vcc
	global_load_dwordx4 v[30:33], v[46:47], off offset:1552
	global_load_dwordx4 v[34:37], v[42:43], off offset:1568
	;; [unrolled: 1-line block ×3, first 2 shown]
	v_add_co_u32_e32 v58, vcc, s0, v44
	v_mul_lo_u32 v28, s11, v84
	s_nop 0
	v_addc_co_u32_e32 v59, vcc, 0, v45, vcc
	global_load_dwordx4 v[42:45], v[58:59], off offset:4016
	global_load_dwordx4 v[46:49], v[58:59], off offset:3200
	;; [unrolled: 1-line block ×4, first 2 shown]
	v_mul_lo_u32 v70, s10, v85
	v_mad_u64_u32 v[78:79], s[2:3], s10, v84, 0
	v_add_u32_e32 v71, 0x1000, v132
	v_add_u32_e32 v84, 0xc00, v132
	v_add_u32_e32 v83, 0x800, v132
	ds_read2_b64 v[58:61], v132 offset0:204 offset1:255
	ds_read2_b64 v[62:65], v132 offset0:102 offset1:153
	ds_read2_b64 v[66:69], v132 offset1:51
	v_add3_u32 v79, v79, v70, v28
	ds_read2_b64 v[70:73], v71 offset0:100 offset1:151
	ds_read2_b64 v[74:77], v83 offset0:50 offset1:101
	;; [unrolled: 1-line block ×4, first 2 shown]
	s_mov_b32 s1, 0x16f26017
	s_waitcnt vmcnt(6)
	v_mul_f64 v[94:95], v[24:25], v[32:33]
	s_waitcnt vmcnt(5)
	v_mul_f64 v[92:93], v[26:27], v[36:37]
	s_waitcnt lgkmcnt(3)
	v_mul_f64 v[36:37], v[72:73], v[36:37]
	v_mul_f64 v[32:33], v[70:71], v[32:33]
	s_waitcnt vmcnt(4)
	v_mul_f64 v[96:97], v[22:23], v[40:41]
	s_waitcnt vmcnt(3)
	v_mul_f64 v[98:99], v[20:21], v[44:45]
	s_waitcnt lgkmcnt(1)
	v_mul_f64 v[44:45], v[84:85], v[44:45]
	s_waitcnt vmcnt(1)
	v_mul_f64 v[102:103], v[16:17], v[52:53]
	s_waitcnt lgkmcnt(0)
	v_mul_f64 v[52:53], v[88:89], v[52:53]
	v_fma_f64 v[26:27], v[26:27], v[34:35], -v[36:37]
	v_fma_f64 v[24:25], v[24:25], v[30:31], -v[32:33]
	v_fmac_f64_e32 v[96:97], v[86:87], v[38:39]
	v_mul_f64 v[40:41], v[86:87], v[40:41]
	v_mul_f64 v[100:101], v[18:19], v[48:49]
	;; [unrolled: 1-line block ×3, first 2 shown]
	v_fmac_f64_e32 v[92:93], v[72:73], v[34:35]
	v_fmac_f64_e32 v[94:95], v[70:71], v[30:31]
	v_fma_f64 v[34:35], v[20:21], v[42:43], -v[44:45]
	v_fma_f64 v[70:71], v[16:17], v[50:51], -v[52:53]
	v_add_f64 v[16:17], v[4:5], -v[26:27]
	v_add_f64 v[20:21], v[14:15], -v[24:25]
	;; [unrolled: 1-line block ×3, first 2 shown]
	v_fma_f64 v[30:31], v[22:23], v[38:39], -v[40:41]
	v_fmac_f64_e32 v[100:101], v[90:91], v[46:47]
	v_fma_f64 v[38:39], v[18:19], v[46:47], -v[48:49]
	v_fma_f64 v[46:47], v[14:15], 2.0, -v[20:21]
	v_fma_f64 v[14:15], v[58:59], 2.0, -v[26:27]
	s_waitcnt vmcnt(0)
	v_mul_f64 v[58:59], v[6:7], v[56:57]
	v_mul_f64 v[56:57], v[76:77], v[56:57]
	v_fma_f64 v[6:7], v[6:7], v[54:55], -v[56:57]
	v_add_f64 v[22:23], v[60:61], -v[94:95]
	v_add_f64 v[56:57], v[0:1], -v[6:7]
	v_fma_f64 v[48:49], v[60:61], 2.0, -v[22:23]
	v_fma_f64 v[60:61], v[0:1], 2.0, -v[56:57]
	v_mul_hi_u32 v0, v82, s1
	v_lshrrev_b32_e32 v0, 5, v0
	v_mul_u32_u24_e32 v0, 0x165, v0
	v_fmac_f64_e32 v[58:59], v[76:77], v[54:55]
	v_sub_u32_e32 v6, v82, v0
	v_lshl_add_u64 v[0:1], v[78:79], 4, s[6:7]
	v_add_f64 v[24:25], v[12:13], -v[30:31]
	v_add_f64 v[30:31], v[10:11], -v[34:35]
	;; [unrolled: 1-line block ×4, first 2 shown]
	v_lshl_add_u64 v[0:1], v[80:81], 4, v[0:1]
	v_lshlrev_b32_e32 v28, 4, v6
	v_fmac_f64_e32 v[102:103], v[88:89], v[50:51]
	v_fma_f64 v[50:51], v[10:11], 2.0, -v[30:31]
	v_fma_f64 v[10:11], v[62:63], 2.0, -v[36:37]
	;; [unrolled: 1-line block ×3, first 2 shown]
	v_lshl_add_u64 v[6:7], v[0:1], 0, v[28:29]
	global_store_dwordx4 v[6:7], v[60:63], off
	v_add_co_u32_e32 v6, vcc, s0, v6
	s_movk_i32 s0, 0x2ca
	s_nop 0
	v_addc_co_u32_e32 v7, vcc, 0, v7, vcc
	global_store_dwordx4 v[6:7], v[56:59], off offset:1616
	v_add_u32_e32 v6, 51, v82
	v_mul_hi_u32 v7, v6, s1
	v_lshrrev_b32_e32 v7, 5, v7
	v_mul_u32_u24_e32 v28, 0x165, v7
	v_sub_u32_e32 v6, v6, v28
	v_add_f64 v[34:35], v[8:9], -v[38:39]
	v_add_f64 v[40:41], v[68:69], -v[102:103]
	;; [unrolled: 1-line block ×3, first 2 shown]
	v_mad_u32_u24 v28, v7, s0, v6
	v_fmac_f64_e32 v[98:99], v[84:85], v[42:43]
	v_fma_f64 v[42:43], v[4:5], 2.0, -v[16:17]
	v_fma_f64 v[4:5], v[68:69], 2.0, -v[40:41]
	;; [unrolled: 1-line block ×3, first 2 shown]
	v_lshl_add_u64 v[6:7], v[28:29], 4, v[0:1]
	v_add_u32_e32 v28, 0x165, v28
	global_store_dwordx4 v[6:7], v[2:5], off
	v_fma_f64 v[8:9], v[8:9], 2.0, -v[34:35]
	v_add_f64 v[32:33], v[64:65], -v[98:99]
	v_lshl_add_u64 v[2:3], v[28:29], 4, v[0:1]
	global_store_dwordx4 v[2:3], v[38:41], off
	v_add_u32_e32 v2, 0x66, v82
	v_mul_hi_u32 v3, v2, s1
	v_lshrrev_b32_e32 v3, 5, v3
	v_mul_u32_u24_e32 v4, 0x165, v3
	v_sub_u32_e32 v2, v2, v4
	v_mad_u32_u24 v28, v3, s0, v2
	v_lshl_add_u64 v[2:3], v[28:29], 4, v[0:1]
	v_add_u32_e32 v28, 0x165, v28
	global_store_dwordx4 v[2:3], v[8:11], off
	v_lshl_add_u64 v[2:3], v[28:29], 4, v[0:1]
	global_store_dwordx4 v[2:3], v[34:37], off
	v_add_u32_e32 v2, 0x99, v82
	v_mul_hi_u32 v3, v2, s1
	v_lshrrev_b32_e32 v3, 5, v3
	v_mul_u32_u24_e32 v4, 0x165, v3
	v_sub_u32_e32 v2, v2, v4
	v_mad_u32_u24 v28, v3, s0, v2
	v_fma_f64 v[52:53], v[64:65], 2.0, -v[32:33]
	v_lshl_add_u64 v[2:3], v[28:29], 4, v[0:1]
	v_add_u32_e32 v28, 0x165, v28
	global_store_dwordx4 v[2:3], v[50:53], off
	v_lshl_add_u64 v[2:3], v[28:29], 4, v[0:1]
	global_store_dwordx4 v[2:3], v[30:33], off
	v_add_u32_e32 v2, 0xcc, v82
	v_mul_hi_u32 v3, v2, s1
	v_lshrrev_b32_e32 v3, 5, v3
	v_mul_u32_u24_e32 v4, 0x165, v3
	v_sub_u32_e32 v2, v2, v4
	v_mad_u32_u24 v28, v3, s0, v2
	v_fma_f64 v[12:13], v[12:13], 2.0, -v[24:25]
	v_lshl_add_u64 v[2:3], v[28:29], 4, v[0:1]
	v_add_u32_e32 v28, 0x165, v28
	global_store_dwordx4 v[2:3], v[12:15], off
	v_lshl_add_u64 v[2:3], v[28:29], 4, v[0:1]
	global_store_dwordx4 v[2:3], v[24:27], off
	v_add_u32_e32 v2, 0xff, v82
	v_mul_hi_u32 v3, v2, s1
	v_lshrrev_b32_e32 v3, 5, v3
	v_mul_u32_u24_e32 v4, 0x165, v3
	v_sub_u32_e32 v2, v2, v4
	v_mad_u32_u24 v28, v3, s0, v2
	v_lshl_add_u64 v[2:3], v[28:29], 4, v[0:1]
	v_add_u32_e32 v28, 0x165, v28
	global_store_dwordx4 v[2:3], v[46:49], off
	v_lshl_add_u64 v[2:3], v[28:29], 4, v[0:1]
	global_store_dwordx4 v[2:3], v[20:23], off
	v_add_u32_e32 v2, 0x132, v82
	v_mul_hi_u32 v3, v2, s1
	v_lshrrev_b32_e32 v3, 5, v3
	v_mul_u32_u24_e32 v4, 0x165, v3
	v_sub_u32_e32 v2, v2, v4
	v_mad_u32_u24 v28, v3, s0, v2
	v_add_f64 v[18:19], v[74:75], -v[92:93]
	v_lshl_add_u64 v[2:3], v[28:29], 4, v[0:1]
	v_add_u32_e32 v28, 0x165, v28
	v_fma_f64 v[44:45], v[74:75], 2.0, -v[18:19]
	v_lshl_add_u64 v[0:1], v[28:29], 4, v[0:1]
	global_store_dwordx4 v[2:3], v[42:45], off
	global_store_dwordx4 v[0:1], v[16:19], off
.LBB0_29:
	s_endpgm
	.section	.rodata,"a",@progbits
	.p2align	6, 0x0
	.amdhsa_kernel fft_rtc_fwd_len714_factors_3_17_7_2_wgs_51_tpt_51_halfLds_dp_op_CI_CI_unitstride_sbrr_dirReg
		.amdhsa_group_segment_fixed_size 0
		.amdhsa_private_segment_fixed_size 0
		.amdhsa_kernarg_size 104
		.amdhsa_user_sgpr_count 2
		.amdhsa_user_sgpr_dispatch_ptr 0
		.amdhsa_user_sgpr_queue_ptr 0
		.amdhsa_user_sgpr_kernarg_segment_ptr 1
		.amdhsa_user_sgpr_dispatch_id 0
		.amdhsa_user_sgpr_kernarg_preload_length 0
		.amdhsa_user_sgpr_kernarg_preload_offset 0
		.amdhsa_user_sgpr_private_segment_size 0
		.amdhsa_uses_dynamic_stack 0
		.amdhsa_enable_private_segment 0
		.amdhsa_system_sgpr_workgroup_id_x 1
		.amdhsa_system_sgpr_workgroup_id_y 0
		.amdhsa_system_sgpr_workgroup_id_z 0
		.amdhsa_system_sgpr_workgroup_info 0
		.amdhsa_system_vgpr_workitem_id 0
		.amdhsa_next_free_vgpr 166
		.amdhsa_next_free_sgpr 58
		.amdhsa_accum_offset 168
		.amdhsa_reserve_vcc 1
		.amdhsa_float_round_mode_32 0
		.amdhsa_float_round_mode_16_64 0
		.amdhsa_float_denorm_mode_32 3
		.amdhsa_float_denorm_mode_16_64 3
		.amdhsa_dx10_clamp 1
		.amdhsa_ieee_mode 1
		.amdhsa_fp16_overflow 0
		.amdhsa_tg_split 0
		.amdhsa_exception_fp_ieee_invalid_op 0
		.amdhsa_exception_fp_denorm_src 0
		.amdhsa_exception_fp_ieee_div_zero 0
		.amdhsa_exception_fp_ieee_overflow 0
		.amdhsa_exception_fp_ieee_underflow 0
		.amdhsa_exception_fp_ieee_inexact 0
		.amdhsa_exception_int_div_zero 0
	.end_amdhsa_kernel
	.text
.Lfunc_end0:
	.size	fft_rtc_fwd_len714_factors_3_17_7_2_wgs_51_tpt_51_halfLds_dp_op_CI_CI_unitstride_sbrr_dirReg, .Lfunc_end0-fft_rtc_fwd_len714_factors_3_17_7_2_wgs_51_tpt_51_halfLds_dp_op_CI_CI_unitstride_sbrr_dirReg
                                        ; -- End function
	.section	.AMDGPU.csdata,"",@progbits
; Kernel info:
; codeLenInByte = 13352
; NumSgprs: 64
; NumVgprs: 166
; NumAgprs: 0
; TotalNumVgprs: 166
; ScratchSize: 0
; MemoryBound: 1
; FloatMode: 240
; IeeeMode: 1
; LDSByteSize: 0 bytes/workgroup (compile time only)
; SGPRBlocks: 7
; VGPRBlocks: 20
; NumSGPRsForWavesPerEU: 64
; NumVGPRsForWavesPerEU: 166
; AccumOffset: 168
; Occupancy: 3
; WaveLimiterHint : 1
; COMPUTE_PGM_RSRC2:SCRATCH_EN: 0
; COMPUTE_PGM_RSRC2:USER_SGPR: 2
; COMPUTE_PGM_RSRC2:TRAP_HANDLER: 0
; COMPUTE_PGM_RSRC2:TGID_X_EN: 1
; COMPUTE_PGM_RSRC2:TGID_Y_EN: 0
; COMPUTE_PGM_RSRC2:TGID_Z_EN: 0
; COMPUTE_PGM_RSRC2:TIDIG_COMP_CNT: 0
; COMPUTE_PGM_RSRC3_GFX90A:ACCUM_OFFSET: 41
; COMPUTE_PGM_RSRC3_GFX90A:TG_SPLIT: 0
	.text
	.p2alignl 6, 3212836864
	.fill 256, 4, 3212836864
	.type	__hip_cuid_dff0707c14063f0,@object ; @__hip_cuid_dff0707c14063f0
	.section	.bss,"aw",@nobits
	.globl	__hip_cuid_dff0707c14063f0
__hip_cuid_dff0707c14063f0:
	.byte	0                               ; 0x0
	.size	__hip_cuid_dff0707c14063f0, 1

	.ident	"AMD clang version 19.0.0git (https://github.com/RadeonOpenCompute/llvm-project roc-6.4.0 25133 c7fe45cf4b819c5991fe208aaa96edf142730f1d)"
	.section	".note.GNU-stack","",@progbits
	.addrsig
	.addrsig_sym __hip_cuid_dff0707c14063f0
	.amdgpu_metadata
---
amdhsa.kernels:
  - .agpr_count:     0
    .args:
      - .actual_access:  read_only
        .address_space:  global
        .offset:         0
        .size:           8
        .value_kind:     global_buffer
      - .offset:         8
        .size:           8
        .value_kind:     by_value
      - .actual_access:  read_only
        .address_space:  global
        .offset:         16
        .size:           8
        .value_kind:     global_buffer
      - .actual_access:  read_only
        .address_space:  global
        .offset:         24
        .size:           8
        .value_kind:     global_buffer
      - .actual_access:  read_only
        .address_space:  global
        .offset:         32
        .size:           8
        .value_kind:     global_buffer
      - .offset:         40
        .size:           8
        .value_kind:     by_value
      - .actual_access:  read_only
        .address_space:  global
        .offset:         48
        .size:           8
        .value_kind:     global_buffer
      - .actual_access:  read_only
        .address_space:  global
        .offset:         56
        .size:           8
        .value_kind:     global_buffer
      - .offset:         64
        .size:           4
        .value_kind:     by_value
      - .actual_access:  read_only
        .address_space:  global
        .offset:         72
        .size:           8
        .value_kind:     global_buffer
      - .actual_access:  read_only
        .address_space:  global
        .offset:         80
        .size:           8
        .value_kind:     global_buffer
      - .actual_access:  read_only
        .address_space:  global
        .offset:         88
        .size:           8
        .value_kind:     global_buffer
      - .actual_access:  write_only
        .address_space:  global
        .offset:         96
        .size:           8
        .value_kind:     global_buffer
    .group_segment_fixed_size: 0
    .kernarg_segment_align: 8
    .kernarg_segment_size: 104
    .language:       OpenCL C
    .language_version:
      - 2
      - 0
    .max_flat_workgroup_size: 51
    .name:           fft_rtc_fwd_len714_factors_3_17_7_2_wgs_51_tpt_51_halfLds_dp_op_CI_CI_unitstride_sbrr_dirReg
    .private_segment_fixed_size: 0
    .sgpr_count:     64
    .sgpr_spill_count: 0
    .symbol:         fft_rtc_fwd_len714_factors_3_17_7_2_wgs_51_tpt_51_halfLds_dp_op_CI_CI_unitstride_sbrr_dirReg.kd
    .uniform_work_group_size: 1
    .uses_dynamic_stack: false
    .vgpr_count:     166
    .vgpr_spill_count: 0
    .wavefront_size: 64
amdhsa.target:   amdgcn-amd-amdhsa--gfx950
amdhsa.version:
  - 1
  - 2
...

	.end_amdgpu_metadata
